;; amdgpu-corpus repo=ROCm/rocFFT kind=compiled arch=gfx1201 opt=O3
	.text
	.amdgcn_target "amdgcn-amd-amdhsa--gfx1201"
	.amdhsa_code_object_version 6
	.protected	bluestein_single_back_len2304_dim1_half_op_CI_CI ; -- Begin function bluestein_single_back_len2304_dim1_half_op_CI_CI
	.globl	bluestein_single_back_len2304_dim1_half_op_CI_CI
	.p2align	8
	.type	bluestein_single_back_len2304_dim1_half_op_CI_CI,@function
bluestein_single_back_len2304_dim1_half_op_CI_CI: ; @bluestein_single_back_len2304_dim1_half_op_CI_CI
; %bb.0:
	s_load_b128 s[12:15], s[0:1], 0x28
	v_mul_u32_u24_e32 v1, 0x156, v0
	s_mov_b32 s2, exec_lo
	v_mov_b32_e32 v36, 0
	s_delay_alu instid0(VALU_DEP_2) | instskip(NEXT) | instid1(VALU_DEP_1)
	v_lshrrev_b32_e32 v1, 16, v1
	v_add_nc_u32_e32 v35, ttmp9, v1
	s_wait_kmcnt 0x0
	s_delay_alu instid0(VALU_DEP_1)
	v_cmpx_gt_u64_e64 s[12:13], v[35:36]
	s_cbranch_execz .LBB0_2
; %bb.1:
	s_load_b128 s[4:7], s[0:1], 0x18
	v_mul_lo_u16 v1, 0xc0, v1
	s_load_b128 s[8:11], s[0:1], 0x0
	s_wait_kmcnt 0x0
	s_load_b128 s[16:19], s[4:5], 0x0
	s_delay_alu instid0(VALU_DEP_1) | instskip(SKIP_1) | instid1(VALU_DEP_1)
	v_sub_nc_u16 v26, v0, v1
	s_load_b64 s[0:1], s[0:1], 0x38
	v_and_b32_e32 v108, 0xffff, v26
	v_and_b32_e32 v12, 0xff, v26
	s_wait_kmcnt 0x0
	v_mad_co_u64_u32 v[0:1], null, s18, v35, 0
	s_delay_alu instid0(VALU_DEP_3) | instskip(SKIP_2) | instid1(VALU_DEP_1)
	v_mad_co_u64_u32 v[2:3], null, s16, v108, 0
	s_mul_u64 s[2:3], s[16:17], 0x600
	s_mul_i32 s4, s17, 0xc00
	v_mad_co_u64_u32 v[6:7], null, s19, v35, v[1:2]
	s_delay_alu instid0(VALU_DEP_1) | instskip(SKIP_3) | instid1(VALU_DEP_4)
	v_mov_b32_e32 v1, v6
	v_or_b32_e32 v69, 0x300, v108
	v_or_b32_e32 v68, 0x600, v108
	v_add_co_u32 v17, null, 0xc0, v108
	v_lshlrev_b64_e32 v[0:1], 2, v[0:1]
	s_delay_alu instid0(VALU_DEP_4) | instskip(NEXT) | instid1(VALU_DEP_4)
	v_mad_co_u64_u32 v[4:5], null, s16, v69, 0
	v_mad_co_u64_u32 v[7:8], null, s16, v68, 0
	v_lshlrev_b32_e32 v57, 2, v108
	s_delay_alu instid0(VALU_DEP_3) | instskip(NEXT) | instid1(VALU_DEP_3)
	v_mad_co_u64_u32 v[9:10], null, s17, v108, v[3:4]
	v_mov_b32_e32 v6, v8
	s_clause 0xb
	global_load_b32 v55, v57, s[8:9]
	global_load_b32 v56, v57, s[8:9] offset:6144
	global_load_b32 v58, v57, s[8:9] offset:5376
	;; [unrolled: 1-line block ×11, first 2 shown]
	v_mov_b32_e32 v3, v9
	v_mad_co_u64_u32 v[8:9], null, s17, v69, v[5:6]
	v_mad_co_u64_u32 v[9:10], null, s17, v68, v[6:7]
	v_add_co_u32 v10, vcc_lo, s14, v0
	v_add_co_ci_u32_e32 v11, vcc_lo, s15, v1, vcc_lo
	s_delay_alu instid0(VALU_DEP_3) | instskip(SKIP_1) | instid1(VALU_DEP_2)
	v_dual_mov_b32 v5, v8 :: v_dual_mov_b32 v8, v9
	v_lshlrev_b64_e32 v[2:3], 2, v[2:3]
	v_lshlrev_b64_e32 v[4:5], 2, v[4:5]
	s_delay_alu instid0(VALU_DEP_3) | instskip(NEXT) | instid1(VALU_DEP_3)
	v_lshlrev_b64_e32 v[6:7], 2, v[7:8]
	v_add_co_u32 v0, vcc_lo, v10, v2
	s_wait_alu 0xfffd
	s_delay_alu instid0(VALU_DEP_4) | instskip(NEXT) | instid1(VALU_DEP_2)
	v_add_co_ci_u32_e32 v1, vcc_lo, v11, v3, vcc_lo
	v_add_co_u32 v2, vcc_lo, v0, s2
	s_wait_alu 0xfffd
	s_delay_alu instid0(VALU_DEP_2)
	v_add_co_ci_u32_e32 v3, vcc_lo, s3, v1, vcc_lo
	v_add_co_u32 v4, vcc_lo, v10, v4
	global_load_b32 v13, v[0:1], off
	v_mad_co_u64_u32 v[8:9], null, 0xc00, s16, v[2:3]
	s_wait_alu 0xfffd
	v_add_co_ci_u32_e32 v5, vcc_lo, v11, v5, vcc_lo
	v_add_co_u32 v6, vcc_lo, v10, v6
	s_wait_alu 0xfffd
	v_add_co_ci_u32_e32 v7, vcc_lo, v11, v7, vcc_lo
	s_delay_alu instid0(VALU_DEP_4)
	v_add_nc_u32_e32 v9, s4, v9
	s_clause 0x2
	global_load_b32 v4, v[4:5], off
	global_load_b32 v5, v[6:7], off
	;; [unrolled: 1-line block ×3, first 2 shown]
	v_and_b32_e32 v11, 0xffff, v17
	v_mad_co_u64_u32 v[0:1], null, 0xc00, s16, v[8:9]
	global_load_b32 v7, v[8:9], off
	v_add_nc_u32_e32 v1, s4, v1
	s_mul_i32 s4, s17, 0xffffe500
	s_wait_alu 0xfffe
	s_sub_co_i32 s4, s4, s16
	global_load_b32 v14, v[0:1], off
	v_mad_co_u64_u32 v[2:3], null, 0xffffe500, s16, v[0:1]
	s_wait_alu 0xfffe
	s_delay_alu instid0(VALU_DEP_1) | instskip(NEXT) | instid1(VALU_DEP_2)
	v_add_nc_u32_e32 v3, s4, v3
	v_add_co_u32 v0, vcc_lo, v2, s2
	s_wait_alu 0xfffd
	s_delay_alu instid0(VALU_DEP_2)
	v_add_co_ci_u32_e32 v1, vcc_lo, s3, v3, vcc_lo
	global_load_b32 v15, v[2:3], off
	v_add_co_u32 v2, vcc_lo, v0, s2
	s_wait_alu 0xfffd
	v_add_co_ci_u32_e32 v3, vcc_lo, s3, v1, vcc_lo
	global_load_b32 v16, v[0:1], off
	v_add_co_u32 v0, vcc_lo, v2, s2
	s_wait_alu 0xfffd
	;; [unrolled: 4-line block ×4, first 2 shown]
	v_add_co_ci_u32_e32 v1, vcc_lo, s3, v3, vcc_lo
	global_load_b32 v2, v[2:3], off
	global_load_b32 v0, v[0:1], off
	v_mul_u32_u24_e32 v1, 0xaaab, v11
	v_mul_lo_u16 v3, 0xab, v12
	v_cmp_gt_u16_e32 vcc_lo, 0x90, v26
	s_load_b128 s[4:7], s[6:7], 0x0
	v_mul_lo_u16 v12, v12, 57
	v_lshrrev_b32_e32 v8, 18, v1
	v_mul_lo_u16 v1, v26, 6
	v_lshrrev_b16 v10, 10, v3
	s_delay_alu instid0(VALU_DEP_3) | instskip(NEXT) | instid1(VALU_DEP_3)
	v_mul_lo_u16 v3, v8, 6
	v_and_b32_e32 v20, 0xffff, v1
	s_delay_alu instid0(VALU_DEP_3) | instskip(SKIP_1) | instid1(VALU_DEP_4)
	v_mul_lo_u16 v21, v10, 6
	v_and_b32_e32 v10, 0xffff, v10
	v_sub_nc_u16 v9, v17, v3
	s_delay_alu instid0(VALU_DEP_4) | instskip(NEXT) | instid1(VALU_DEP_3)
	v_lshlrev_b32_e32 v38, 2, v20
	v_mul_u32_u24_e32 v10, 36, v10
	s_wait_loadcnt 0x15
	v_lshrrev_b32_e32 v75, 16, v58
	s_wait_loadcnt 0x14
	v_lshrrev_b32_e32 v78, 16, v59
	;; [unrolled: 2-line block ×4, first 2 shown]
	v_lshrrev_b32_e32 v81, 16, v55
	v_lshrrev_b32_e32 v70, 16, v56
	s_wait_loadcnt 0x10
	v_lshrrev_b32_e32 v79, 16, v63
	s_wait_loadcnt 0xd
	v_lshrrev_b32_e32 v71, 16, v67
	v_lshrrev_b32_e32 v72, 16, v64
	;; [unrolled: 1-line block ×3, first 2 shown]
	s_wait_loadcnt 0xc
	v_lshrrev_b32_e32 v76, 16, v66
	v_lshrrev_b32_e32 v77, 16, v65
	s_wait_loadcnt 0xb
	v_lshrrev_b32_e32 v1, 16, v13
	v_mul_f16_e32 v3, v81, v13
	s_delay_alu instid0(VALU_DEP_2) | instskip(NEXT) | instid1(VALU_DEP_2)
	v_mul_f16_e32 v27, v81, v1
	v_fma_f16 v1, v55, v1, -v3
	s_wait_loadcnt 0xa
	v_lshrrev_b32_e32 v22, 16, v4
	v_mul_f16_e32 v23, v80, v4
	s_wait_loadcnt 0x9
	v_lshrrev_b32_e32 v24, 16, v5
	v_mul_f16_e32 v25, v70, v5
	;; [unrolled: 3-line block ×3, first 2 shown]
	v_fma_f16 v22, v62, v22, -v23
	v_mul_f16_e32 v23, v70, v24
	v_fma_f16 v24, v56, v24, -v25
	v_fmac_f16_e32 v27, v55, v13
	v_mul_f16_e32 v13, v79, v3
	s_wait_loadcnt 0x7
	v_lshrrev_b32_e32 v25, 16, v7
	v_mul_f16_e32 v28, v79, v6
	v_fmac_f16_e32 v29, v62, v4
	v_fmac_f16_e32 v23, v56, v5
	v_mul_f16_e32 v4, v78, v7
	v_mul_f16_e32 v5, v78, v25
	v_fmac_f16_e32 v13, v63, v6
	s_wait_loadcnt 0x6
	v_lshrrev_b32_e32 v6, 16, v14
	v_fma_f16 v3, v63, v3, -v28
	v_fma_f16 v4, v59, v25, -v4
	v_fmac_f16_e32 v5, v59, v7
	v_mul_f16_e32 v7, v71, v14
	v_mul_f16_e32 v25, v71, v6
	v_pack_b32_f16 v22, v29, v22
	v_pack_b32_f16 v3, v13, v3
	;; [unrolled: 1-line block ×3, first 2 shown]
	v_fma_f16 v5, v67, v6, -v7
	v_fmac_f16_e32 v25, v67, v14
	ds_store_b32 v57, v22 offset:3072
	ds_store_b32 v57, v3 offset:1536
	v_pack_b32_f16 v23, v23, v24
	ds_store_b32 v57, v4 offset:4608
	v_pack_b32_f16 v1, v27, v1
	s_wait_loadcnt 0x5
	v_lshrrev_b32_e32 v6, 16, v15
	v_mul_f16_e32 v3, v72, v15
	v_pack_b32_f16 v4, v25, v5
	ds_store_b32 v57, v23 offset:6144
	ds_store_b32 v57, v4 offset:7680
	v_mul_f16_e32 v5, v72, v6
	v_fma_f16 v3, v64, v6, -v3
	s_wait_loadcnt 0x4
	v_lshrrev_b32_e32 v7, 16, v16
	v_mul_f16_e32 v6, v73, v16
	s_wait_loadcnt 0x3
	v_lshrrev_b32_e32 v13, 16, v18
	v_fmac_f16_e32 v5, v64, v15
	v_mul_f16_e32 v14, v74, v18
	v_mul_f16_e32 v4, v73, v7
	v_fma_f16 v6, v61, v7, -v6
	s_delay_alu instid0(VALU_DEP_4)
	v_pack_b32_f16 v3, v5, v3
	v_mul_f16_e32 v5, v74, v13
	v_fma_f16 v7, v60, v13, -v14
	s_wait_loadcnt 0x2
	v_lshrrev_b32_e32 v13, 16, v19
	v_mul_f16_e32 v14, v75, v19
	ds_store_2addr_stride64_b32 v57, v1, v3 offset1:3
	s_wait_loadcnt 0x1
	v_lshrrev_b32_e32 v1, 16, v2
	s_wait_loadcnt 0x0
	v_lshrrev_b32_e32 v15, 16, v0
	v_mul_f16_e32 v3, v75, v13
	v_fmac_f16_e32 v4, v61, v16
	v_fma_f16 v13, v58, v13, -v14
	v_mul_f16_e32 v14, v76, v2
	v_mul_f16_e32 v16, v76, v1
	v_fmac_f16_e32 v5, v60, v18
	v_mul_f16_e32 v18, v77, v0
	v_mul_f16_e32 v22, v77, v15
	v_fmac_f16_e32 v3, v58, v19
	v_fma_f16 v1, v66, v1, -v14
	v_fmac_f16_e32 v16, v66, v2
	v_fma_f16 v2, v65, v15, -v18
	v_fmac_f16_e32 v22, v65, v0
	v_pack_b32_f16 v0, v4, v6
	v_pack_b32_f16 v4, v5, v7
	v_pack_b32_f16 v3, v3, v13
	v_pack_b32_f16 v1, v16, v1
	v_pack_b32_f16 v2, v22, v2
	ds_store_b32 v57, v0 offset:2304
	ds_store_b32 v57, v4 offset:3840
	;; [unrolled: 1-line block ×5, first 2 shown]
	global_wb scope:SCOPE_SE
	s_wait_dscnt 0x0
	s_wait_kmcnt 0x0
	s_barrier_signal -1
	s_barrier_wait -1
	global_inv scope:SCOPE_SE
	ds_load_2addr_stride64_b32 v[0:1], v57 offset1:3
	ds_load_2addr_stride64_b32 v[2:3], v57 offset0:6 offset1:9
	ds_load_2addr_stride64_b32 v[4:5], v57 offset0:12 offset1:15
	;; [unrolled: 1-line block ×5, first 2 shown]
	v_mul_lo_u16 v16, v9, 20
	v_sub_nc_u16 v13, v26, v21
	v_mul_u32_u24_e32 v21, 6, v17
	global_wb scope:SCOPE_SE
	s_wait_dscnt 0x0
	s_barrier_signal -1
	v_and_b32_e32 v16, 0xffff, v16
	v_and_b32_e32 v13, 0xff, v13
	v_lshlrev_b32_e32 v53, 2, v21
	s_barrier_wait -1
	global_inv scope:SCOPE_SE
	v_add_co_u32 v22, s2, s10, v16
	v_mad_co_u64_u32 v[20:21], null, v13, 20, s[10:11]
	s_wait_alu 0xf1ff
	v_add_co_ci_u32_e64 v23, null, s11, 0, s2
	v_pk_add_f16 v16, v1, v5
	v_pk_add_f16 v24, v3, v7
	v_pk_add_f16 v25, v0, v4
	v_pk_add_f16 v28, v4, v14
	v_pk_add_f16 v4, v4, v14 neg_lo:[0,1] neg_hi:[0,1]
	v_pk_add_f16 v29, v6, v18
	v_pk_add_f16 v27, v2, v6
	;; [unrolled: 1-line block ×3, first 2 shown]
	v_pk_add_f16 v6, v6, v18 neg_lo:[0,1] neg_hi:[0,1]
	v_pk_add_f16 v30, v5, v15
	v_pk_add_f16 v5, v5, v15 neg_lo:[0,1] neg_hi:[0,1]
	v_pk_add_f16 v7, v7, v19 neg_lo:[0,1] neg_hi:[0,1]
	v_pk_add_f16 v15, v16, v15
	v_pk_add_f16 v16, v24, v19
	v_pk_fma_f16 v19, v28, 0.5, v0 op_sel_hi:[1,0,1] neg_lo:[1,0,0] neg_hi:[1,0,0]
	v_pk_mul_f16 v4, 0x3aee, v4 op_sel_hi:[0,1]
	v_pk_fma_f16 v24, v29, 0.5, v2 op_sel_hi:[1,0,1] neg_lo:[1,0,0] neg_hi:[1,0,0]
	v_pk_add_f16 v14, v25, v14
	v_pk_add_f16 v18, v27, v18
	v_pk_fma_f16 v3, v31, 0.5, v3 op_sel_hi:[1,0,1] neg_lo:[1,0,0] neg_hi:[1,0,0]
	v_pk_fma_f16 v1, v30, 0.5, v1 op_sel_hi:[1,0,1] neg_lo:[1,0,0] neg_hi:[1,0,0]
	v_pk_mul_f16 v25, 0x3aee, v5 op_sel_hi:[0,1]
	v_pk_add_f16 v27, v19, v4 op_sel:[0,1] op_sel_hi:[1,0]
	v_pk_add_f16 v19, v19, v4 op_sel:[0,1] op_sel_hi:[1,0] neg_lo:[0,1] neg_hi:[0,1]
	v_pk_fma_f16 v4, 0x3aee, v6, v24 op_sel:[0,0,1] op_sel_hi:[0,1,0]
	v_pk_fma_f16 v6, 0x3aee, v6, v24 op_sel:[0,0,1] op_sel_hi:[0,1,0] neg_lo:[0,1,0] neg_hi:[0,1,0]
	v_pk_add_f16 v2, v14, v18
	v_pk_add_f16 v5, v14, v18 neg_lo:[0,1] neg_hi:[0,1]
	v_pk_fma_f16 v18, 0x3aee, v7, v3 op_sel:[0,0,1] op_sel_hi:[0,1,0]
	v_pk_fma_f16 v3, 0x3aee, v7, v3 op_sel:[0,0,1] op_sel_hi:[0,1,0] neg_lo:[0,1,0] neg_hi:[0,1,0]
	v_pk_add_f16 v14, v1, v25 op_sel:[0,1] op_sel_hi:[1,0]
	v_pk_add_f16 v1, v1, v25 op_sel:[0,1] op_sel_hi:[1,0] neg_lo:[0,1] neg_hi:[0,1]
	v_lshrrev_b32_e32 v24, 16, v4
	v_bfi_b32 v4, 0xffff, v4, v6
	v_mul_f16_e32 v25, 0x3aee, v6
	v_lshrrev_b32_e32 v31, 16, v18
	v_bfi_b32 v18, 0xffff, v18, v3
	v_mul_f16_e32 v32, 0x3aee, v3
	v_pk_mul_f16 v34, v4, 0.5 op_sel_hi:[1,0]
	v_fmac_f16_e32 v25, 0.5, v24
	v_mul_f16_e32 v24, 0xbaee, v24
	v_pk_mul_f16 v36, v18, 0.5 op_sel_hi:[1,0]
	v_fmac_f16_e32 v32, 0.5, v31
	v_mul_f16_e32 v31, 0xbaee, v31
	v_pk_add_f16 v0, v15, v16
	v_pk_add_f16 v7, v15, v16 neg_lo:[0,1] neg_hi:[0,1]
	v_lshrrev_b32_e32 v15, 16, v19
	v_bfi_b32 v16, 0xffff, v19, v27
	v_fmac_f16_e32 v24, 0.5, v6
	v_pk_fma_f16 v6, 0xbaee3aee, v4, v34 op_sel:[0,0,1] op_sel_hi:[1,1,0] neg_lo:[0,0,1] neg_hi:[0,0,1]
	v_lshrrev_b32_e32 v29, 16, v1
	v_fmac_f16_e32 v31, 0.5, v3
	v_pk_fma_f16 v3, 0xbaee3aee, v18, v36 op_sel:[0,0,1] op_sel_hi:[1,1,0] neg_lo:[0,0,1] neg_hi:[0,0,1]
	v_lshrrev_b32_e32 v28, 16, v27
	v_bfi_b32 v30, 0xffff, v1, v14
	v_lshrrev_b32_e32 v33, 16, v14
	v_add_f16_e32 v37, v27, v25
	v_sub_f16_e32 v25, v27, v25
	v_add_f16_e32 v27, v14, v32
	v_sub_f16_e32 v18, v14, v32
	v_add_f16_e32 v14, v15, v24
	v_pk_add_f16 v4, v16, v6
	v_lshrrev_b32_e32 v15, 16, v6
	v_pack_b32_f16 v16, v24, v6
	v_add_f16_e32 v24, v29, v31
	v_lshrrev_b32_e32 v29, 16, v3
	v_pack_b32_f16 v31, v31, v3
	v_sub_f16_e32 v15, v28, v15
	v_pk_add_f16 v16, v19, v16 op_sel:[1,0] op_sel_hi:[0,1] neg_lo:[0,1] neg_hi:[0,1]
	v_pk_add_f16 v6, v30, v3
	v_sub_f16_e32 v19, v33, v29
	v_pk_add_f16 v28, v1, v31 op_sel:[1,0] op_sel_hi:[0,1] neg_lo:[0,1] neg_hi:[0,1]
	v_pack_b32_f16 v3, v37, v14
	v_alignbit_b32 v15, v15, v16, 16
	v_pack_b32_f16 v14, v25, v16
	v_pack_b32_f16 v1, v27, v24
	v_alignbit_b32 v19, v19, v28, 16
	v_pack_b32_f16 v18, v18, v28
	ds_store_2addr_b64 v38, v[2:3], v[4:5] offset1:1
	ds_store_b64 v38, v[14:15] offset:16
	ds_store_2addr_b64 v53, v[0:1], v[6:7] offset1:1
	ds_store_b64 v53, v[18:19] offset:16
	global_wb scope:SCOPE_SE
	s_wait_dscnt 0x0
	s_barrier_signal -1
	s_barrier_wait -1
	global_inv scope:SCOPE_SE
	s_clause 0x3
	global_load_b128 v[4:7], v[20:21], off
	global_load_b32 v82, v[20:21], off offset:16
	global_load_b128 v[0:3], v[22:23], off
	global_load_b32 v83, v[22:23], off offset:16
	v_add_co_u32 v18, null, 0x180, v108
	v_mul_u32_u24_e32 v27, 0xe38f, v11
	v_lshrrev_b16 v23, 11, v12
	v_add_lshl_u32 v84, v10, v13, 2
	s_delay_alu instid0(VALU_DEP_4)
	v_and_b32_e32 v14, 0xffff, v18
	v_mad_u16 v10, v8, 36, v9
	v_lshrrev_b32_e32 v19, 21, v27
	v_mul_lo_u16 v11, v23, 36
	v_and_b32_e32 v23, 0xffff, v23
	v_mul_u32_u24_e32 v25, 0xe38f, v14
	v_and_b32_e32 v34, 0xffff, v10
	v_mul_lo_u16 v12, v19, 36
	v_sub_nc_u16 v11, v26, v11
	v_mul_u32_u24_e32 v23, 0x90, v23
	v_lshrrev_b32_e32 v20, 21, v25
	v_lshlrev_b32_e32 v85, 2, v34
	v_sub_nc_u16 v22, v17, v12
	v_and_b32_e32 v21, 0xff, v11
	s_delay_alu instid0(VALU_DEP_4) | instskip(NEXT) | instid1(VALU_DEP_3)
	v_mul_lo_u16 v14, v20, 36
	v_mul_lo_u16 v11, v22, 12
	s_delay_alu instid0(VALU_DEP_3) | instskip(NEXT) | instid1(VALU_DEP_3)
	v_mad_co_u64_u32 v[8:9], null, v21, 12, s[10:11]
	v_sub_nc_u16 v24, v18, v14
	v_mad_u16 v19, 0x90, v19, v22
	s_delay_alu instid0(VALU_DEP_4)
	v_and_b32_e32 v36, 0xffff, v11
	ds_load_2addr_stride64_b32 v[10:11], v57 offset1:3
	ds_load_2addr_stride64_b32 v[12:13], v57 offset0:6 offset1:9
	ds_load_2addr_stride64_b32 v[14:15], v57 offset0:12 offset1:15
	;; [unrolled: 1-line block ×5, first 2 shown]
	global_wb scope:SCOPE_SE
	s_wait_loadcnt_dscnt 0x0
	v_mul_lo_u16 v16, v24, 12
	s_barrier_signal -1
	v_add_co_u32 v36, s2, s10, v36
	s_wait_alu 0xf1ff
	v_add_co_ci_u32_e64 v37, null, s11, 0, s2
	v_and_b32_e32 v16, 0xffff, v16
	s_barrier_wait -1
	global_inv scope:SCOPE_SE
	v_mad_u16 v20, 0x90, v20, v24
	v_add_co_u32 v39, s2, s10, v16
	v_lshrrev_b32_e32 v16, 16, v10
	v_lshrrev_b32_e32 v34, 16, v12
	;; [unrolled: 1-line block ×12, first 2 shown]
	s_wait_alu 0xf1ff
	v_add_co_ci_u32_e64 v40, null, s11, 0, s2
	v_lshrrev_b32_e32 v97, 16, v5
	v_lshrrev_b32_e32 v96, 16, v6
	;; [unrolled: 1-line block ×10, first 2 shown]
	v_mul_f16_e32 v54, v41, v97
	v_mul_f16_e32 v87, v14, v97
	;; [unrolled: 1-line block ×19, first 2 shown]
	v_fma_f16 v14, v14, v5, -v54
	v_fma_f16 v28, v28, v6, -v88
	v_fmac_f16_e32 v87, v41, v5
	v_fmac_f16_e32 v103, v42, v6
	;; [unrolled: 1-line block ×4, first 2 shown]
	v_fma_f16 v30, v30, v7, -v105
	v_fma_f16 v32, v32, v82, -v109
	v_mul_f16_e32 v110, v49, v91
	v_fma_f16 v12, v12, v4, -v51
	v_fma_f16 v29, v29, v2, -v101
	v_fmac_f16_e32 v52, v34, v4
	v_fmac_f16_e32 v100, v46, v0
	;; [unrolled: 1-line block ×5, first 2 shown]
	v_fma_f16 v33, v33, v83, -v112
	v_fmac_f16_e32 v113, v50, v83
	v_fma_f16 v13, v13, v0, -v86
	v_fma_f16 v15, v15, v1, -v99
	v_add_f16_e32 v41, v14, v30
	v_add_f16_e32 v44, v87, v106
	;; [unrolled: 1-line block ×4, first 2 shown]
	v_fma_f16 v31, v31, v3, -v110
	v_add_f16_e32 v34, v10, v14
	v_sub_f16_e32 v42, v87, v106
	v_add_f16_e32 v43, v16, v87
	v_add_f16_e32 v46, v12, v28
	v_sub_f16_e32 v48, v103, v107
	v_add_f16_e32 v49, v52, v103
	v_sub_f16_e32 v86, v102, v111
	v_add_f16_e32 v87, v45, v102
	v_add_f16_e32 v88, v102, v111
	;; [unrolled: 1-line block ×3, first 2 shown]
	v_sub_f16_e32 v102, v104, v113
	v_add_f16_e32 v103, v100, v104
	v_add_f16_e32 v104, v104, v113
	v_sub_f16_e32 v14, v14, v30
	v_sub_f16_e32 v28, v28, v32
	v_add_f16_e32 v51, v11, v15
	v_add_f16_e32 v99, v13, v29
	v_fmac_f16_e32 v16, -0.5, v44
	v_fmac_f16_e32 v12, -0.5, v47
	;; [unrolled: 1-line block ×3, first 2 shown]
	v_fma_f16 v10, -0.5, v41, v10
	v_add_f16_e32 v54, v15, v31
	v_sub_f16_e32 v15, v15, v31
	v_sub_f16_e32 v29, v29, v33
	v_add_f16_e32 v30, v34, v30
	v_add_f16_e32 v34, v43, v106
	;; [unrolled: 1-line block ×4, first 2 shown]
	v_fmac_f16_e32 v45, -0.5, v88
	v_fmac_f16_e32 v13, -0.5, v101
	;; [unrolled: 1-line block ×3, first 2 shown]
	v_add_f16_e32 v31, v51, v31
	v_add_f16_e32 v41, v87, v111
	;; [unrolled: 1-line block ×4, first 2 shown]
	v_fmamk_f16 v46, v42, 0x3aee, v10
	v_fmac_f16_e32 v10, 0xbaee, v42
	v_fmamk_f16 v42, v14, 0xbaee, v16
	v_fmac_f16_e32 v16, 0x3aee, v14
	v_fmamk_f16 v14, v48, 0x3aee, v12
	v_fmamk_f16 v47, v28, 0xbaee, v52
	v_fmac_f16_e32 v12, 0xbaee, v48
	v_fmac_f16_e32 v52, 0x3aee, v28
	v_fmac_f16_e32 v11, -0.5, v54
	v_add_f16_e32 v28, v30, v32
	v_add_f16_e32 v48, v34, v43
	v_sub_f16_e32 v30, v30, v32
	v_sub_f16_e32 v32, v34, v43
	v_fmamk_f16 v43, v15, 0xbaee, v45
	v_fmac_f16_e32 v45, 0x3aee, v15
	v_fmamk_f16 v15, v102, 0x3aee, v13
	v_fmamk_f16 v49, v29, 0xbaee, v100
	v_fmac_f16_e32 v13, 0xbaee, v102
	v_fmac_f16_e32 v100, 0x3aee, v29
	v_add_f16_e32 v29, v31, v33
	v_add_f16_e32 v50, v41, v44
	v_sub_f16_e32 v31, v31, v33
	v_sub_f16_e32 v33, v41, v44
	v_mul_f16_e32 v41, 0x3aee, v47
	v_mul_f16_e32 v51, 0xbaee, v14
	v_mul_f16_e32 v44, -0.5, v12
	v_mul_f16_e32 v54, -0.5, v52
	v_fmamk_f16 v34, v86, 0x3aee, v11
	v_fmac_f16_e32 v11, 0xbaee, v86
	v_mul_f16_e32 v86, 0x3aee, v49
	v_pack_b32_f16 v28, v28, v48
	v_mul_f16_e32 v48, 0xbaee, v15
	v_mul_f16_e32 v87, -0.5, v13
	v_pack_b32_f16 v30, v30, v32
	v_mul_f16_e32 v32, -0.5, v100
	v_fmac_f16_e32 v41, 0.5, v14
	v_fmac_f16_e32 v51, 0.5, v47
	v_fmac_f16_e32 v44, 0x3aee, v52
	v_fmac_f16_e32 v54, 0xbaee, v12
	v_fmac_f16_e32 v86, 0.5, v15
	v_fmac_f16_e32 v48, 0.5, v49
	v_fmac_f16_e32 v87, 0x3aee, v100
	v_fmac_f16_e32 v32, 0xbaee, v13
	v_add_f16_e32 v12, v46, v41
	v_add_f16_e32 v14, v42, v51
	;; [unrolled: 1-line block ×4, first 2 shown]
	v_pack_b32_f16 v31, v31, v33
	v_sub_f16_e32 v33, v46, v41
	v_sub_f16_e32 v10, v10, v44
	;; [unrolled: 1-line block ×4, first 2 shown]
	v_add_f16_e32 v42, v34, v86
	v_add_f16_e32 v46, v43, v48
	;; [unrolled: 1-line block ×4, first 2 shown]
	v_sub_f16_e32 v11, v11, v87
	v_sub_f16_e32 v32, v45, v32
	;; [unrolled: 1-line block ×4, first 2 shown]
	v_pack_b32_f16 v12, v12, v14
	v_pack_b32_f16 v13, v13, v15
	;; [unrolled: 1-line block ×9, first 2 shown]
	ds_store_2addr_b32 v84, v28, v12 offset1:6
	ds_store_2addr_b32 v84, v13, v30 offset0:12 offset1:18
	ds_store_2addr_b32 v84, v14, v10 offset0:24 offset1:30
	ds_store_2addr_b32 v85, v29, v15 offset1:6
	ds_store_2addr_b32 v85, v16, v31 offset0:12 offset1:18
	ds_store_2addr_b32 v85, v33, v11 offset0:24 offset1:30
	global_wb scope:SCOPE_SE
	s_wait_dscnt 0x0
	s_barrier_signal -1
	s_barrier_wait -1
	global_inv scope:SCOPE_SE
	s_clause 0x2
	global_load_b96 v[8:10], v[8:9], off offset:120
	global_load_b96 v[11:13], v[36:37], off offset:120
	;; [unrolled: 1-line block ×3, first 2 shown]
	v_lshrrev_b32_e32 v39, 23, v27
	v_lshrrev_b32_e32 v40, 23, v25
	v_add_nc_u32_e32 v28, 0xffffff70, v108
	v_add_lshl_u32 v86, v23, v21, 2
	v_and_b32_e32 v23, 0xffff, v19
	v_mul_lo_u16 v25, 0x90, v39
	v_mul_lo_u16 v27, 0x90, v40
	v_cndmask_b32_e32 v41, v28, v108, vcc_lo
	s_delay_alu instid0(VALU_DEP_4) | instskip(NEXT) | instid1(VALU_DEP_4)
	v_lshlrev_b32_e32 v87, 2, v23
	v_sub_nc_u16 v42, v17, v25
	s_delay_alu instid0(VALU_DEP_4) | instskip(NEXT) | instid1(VALU_DEP_4)
	v_sub_nc_u16 v43, v18, v27
	v_mul_i32_i24_e32 v28, 12, v41
	v_mul_hi_i32_i24_e32 v29, 12, v41
	v_and_b32_e32 v25, 0xffff, v20
	v_mul_lo_u16 v22, v42, 12
	v_mul_lo_u16 v24, v43, 12
	v_add_co_u32 v17, vcc_lo, s10, v28
	s_wait_alu 0xfffd
	v_add_co_ci_u32_e32 v18, vcc_lo, s11, v29, vcc_lo
	v_and_b32_e32 v33, 0xffff, v22
	ds_load_2addr_stride64_b32 v[19:20], v57 offset0:18 offset1:21
	ds_load_2addr_stride64_b32 v[21:22], v57 offset0:24 offset1:27
	v_and_b32_e32 v36, 0xffff, v24
	ds_load_2addr_stride64_b32 v[23:24], v57 offset0:12 offset1:15
	ds_load_2addr_stride64_b32 v[27:28], v57 offset0:30 offset1:33
	;; [unrolled: 1-line block ×3, first 2 shown]
	ds_load_2addr_stride64_b32 v[31:32], v57 offset1:3
	v_lshlrev_b32_e32 v88, 2, v25
	v_add_co_u32 v33, s2, s10, v33
	s_wait_alu 0xf1ff
	v_add_co_ci_u32_e64 v34, null, s11, 0, s2
	v_add_co_u32 v36, s2, s10, v36
	s_wait_alu 0xf1ff
	v_add_co_ci_u32_e64 v37, null, s11, 0, s2
	global_wb scope:SCOPE_SE
	s_wait_loadcnt_dscnt 0x0
	s_barrier_signal -1
	s_barrier_wait -1
	global_inv scope:SCOPE_SE
	v_cmp_lt_u16_e32 vcc_lo, 0x8f, v26
	s_add_nc_u64 s[2:3], s[8:9], 0x2400
	v_lshrrev_b32_e32 v25, 16, v19
	v_lshrrev_b32_e32 v44, 16, v22
	;; [unrolled: 1-line block ×21, first 2 shown]
	v_mul_f16_e32 v110, v19, v99
	v_mul_f16_e32 v111, v25, v99
	;; [unrolled: 1-line block ×18, first 2 shown]
	v_fma_f16 v19, v19, v9, -v111
	v_fma_f16 v22, v22, v10, -v112
	v_fmac_f16_e32 v110, v25, v9
	v_fma_f16 v25, v27, v13, -v122
	v_fma_f16 v27, v28, v16, -v123
	v_fmac_f16_e32 v113, v44, v10
	v_fmac_f16_e32 v126, v51, v8
	v_fma_f16 v28, v30, v8, -v127
	v_fma_f16 v20, v20, v12, -v114
	;; [unrolled: 1-line block ×5, first 2 shown]
	v_fmac_f16_e32 v118, v46, v11
	v_fmac_f16_e32 v116, v45, v12
	;; [unrolled: 1-line block ×6, first 2 shown]
	v_sub_f16_e32 v19, v31, v19
	v_sub_f16_e32 v22, v28, v22
	;; [unrolled: 1-line block ×12, first 2 shown]
	v_fma_f16 v28, v28, 2.0, -v22
	v_sub_f16_e32 v49, v19, v30
	v_add_f16_e32 v22, v44, v22
	v_fma_f16 v50, v52, 2.0, -v44
	v_fma_f16 v30, v126, 2.0, -v30
	v_fma_f16 v31, v31, 2.0, -v19
	v_fma_f16 v32, v32, 2.0, -v20
	v_fma_f16 v23, v23, 2.0, -v25
	v_fma_f16 v51, v118, 2.0, -v45
	v_sub_f16_e32 v45, v20, v45
	v_add_f16_e32 v25, v46, v25
	v_fma_f16 v52, v54, 2.0, -v46
	v_fma_f16 v24, v24, 2.0, -v27
	;; [unrolled: 1-line block ×3, first 2 shown]
	v_sub_f16_e32 v47, v21, v47
	v_add_f16_e32 v27, v48, v27
	v_fma_f16 v29, v29, 2.0, -v21
	v_fma_f16 v109, v109, 2.0, -v48
	;; [unrolled: 1-line block ×4, first 2 shown]
	v_sub_f16_e32 v28, v31, v28
	v_sub_f16_e32 v30, v50, v30
	v_fma_f16 v20, v20, 2.0, -v45
	v_fma_f16 v46, v46, 2.0, -v25
	v_pack_b32_f16 v25, v45, v25
	v_fma_f16 v21, v21, 2.0, -v47
	v_fma_f16 v45, v48, 2.0, -v27
	v_pack_b32_f16 v27, v47, v27
	v_sub_f16_e32 v23, v32, v23
	v_sub_f16_e32 v47, v52, v51
	;; [unrolled: 1-line block ×4, first 2 shown]
	v_pack_b32_f16 v19, v19, v44
	v_fma_f16 v31, v31, 2.0, -v28
	v_fma_f16 v44, v50, 2.0, -v30
	v_pack_b32_f16 v28, v28, v30
	v_fma_f16 v30, v32, 2.0, -v23
	v_fma_f16 v32, v52, 2.0, -v47
	;; [unrolled: 3-line block ×3, first 2 shown]
	v_pack_b32_f16 v22, v49, v22
	v_pack_b32_f16 v31, v31, v44
	;; [unrolled: 1-line block ×7, first 2 shown]
	ds_store_2addr_b32 v86, v28, v22 offset0:72 offset1:108
	ds_store_2addr_b32 v86, v31, v19 offset1:36
	ds_store_2addr_b32 v87, v30, v20 offset1:36
	ds_store_2addr_b32 v87, v23, v25 offset0:72 offset1:108
	ds_store_2addr_b32 v88, v29, v21 offset1:36
	ds_store_2addr_b32 v88, v24, v27 offset0:72 offset1:108
	global_wb scope:SCOPE_SE
	s_wait_dscnt 0x0
	s_barrier_signal -1
	s_barrier_wait -1
	global_inv scope:SCOPE_SE
	s_clause 0x2
	global_load_b96 v[17:19], v[17:18], off offset:552
	global_load_b96 v[20:22], v[33:34], off offset:552
	;; [unrolled: 1-line block ×3, first 2 shown]
	v_mad_u16 v27, 0x240, v39, v42
	v_mad_u16 v36, 0x240, v40, v43
	s_wait_alu 0xfffd
	v_cndmask_b32_e64 v34, 0, 0x240, vcc_lo
	s_delay_alu instid0(VALU_DEP_3)
	v_and_b32_e32 v42, 0xffff, v27
	ds_load_2addr_stride64_b32 v[26:27], v57 offset0:6 offset1:9
	ds_load_2addr_stride64_b32 v[28:29], v57 offset0:18 offset1:21
	;; [unrolled: 1-line block ×3, first 2 shown]
	ds_load_2addr_stride64_b32 v[32:33], v57 offset1:3
	v_and_b32_e32 v43, 0xffff, v36
	ds_load_2addr_stride64_b32 v[36:37], v57 offset0:12 offset1:15
	ds_load_2addr_stride64_b32 v[39:40], v57 offset0:30 offset1:33
	v_add_lshl_u32 v109, v41, v34, 2
	v_lshlrev_b32_e32 v111, 2, v42
	v_lshlrev_b32_e32 v110, 2, v43
	v_mad_co_u64_u32 v[41:42], null, v108, 12, s[10:11]
	s_delay_alu instid0(VALU_DEP_4) | instskip(NEXT) | instid1(VALU_DEP_4)
	v_add_nc_u32_e32 v114, 0x400, v109
	v_add_nc_u32_e32 v113, 0x400, v111
	s_delay_alu instid0(VALU_DEP_4)
	v_add_nc_u32_e32 v112, 0x400, v110
	global_wb scope:SCOPE_SE
	s_wait_loadcnt_dscnt 0x0
	s_barrier_signal -1
	s_barrier_wait -1
	global_inv scope:SCOPE_SE
	v_lshrrev_b32_e32 v34, 16, v27
	v_lshrrev_b32_e32 v43, 16, v28
	;; [unrolled: 1-line block ×21, first 2 shown]
	v_mul_f16_e32 v124, v27, v117
	v_mul_f16_e32 v125, v28, v116
	;; [unrolled: 1-line block ×4, first 2 shown]
	v_mul_f16_e64 v128, v43, v116
	v_mul_f16_e64 v129, v44, v115
	;; [unrolled: 1-line block ×11, first 2 shown]
	v_fmac_f16_e32 v124, v34, v17
	v_mul_f16_e32 v34, v51, v119
	v_fmac_f16_e32 v125, v43, v18
	v_mul_f16_e32 v43, v39, v122
	;; [unrolled: 2-line block ×3, first 2 shown]
	v_fma_f16 v27, v27, v17, -v126
	v_fma_f16 v28, v28, v18, -v128
	;; [unrolled: 1-line block ×9, first 2 shown]
	v_fmac_f16_e64 v131, v46, v21
	v_fmac_f16_e64 v134, v47, v20
	v_fmac_f16_e32 v43, v50, v22
	v_fmac_f16_e64 v135, v48, v23
	v_fmac_f16_e64 v137, v49, v24
	v_fmac_f16_e32 v44, v51, v25
	v_sub_f16_e32 v40, v45, v125
	v_sub_f16_e32 v31, v27, v31
	;; [unrolled: 1-line block ×7, first 2 shown]
	v_sub_f16_e64 v43, v134, v43
	v_sub_f16_e64 v47, v52, v131
	v_sub_f16_e32 v34, v37, v34
	v_sub_f16_e64 v44, v135, v44
	v_sub_f16_e64 v48, v54, v137
	v_fma_f16 v45, v45, 2.0, -v40
	v_fma_f16 v27, v27, 2.0, -v31
	;; [unrolled: 1-line block ×4, first 2 shown]
	v_sub_f16_e32 v46, v28, v46
	v_add_f16_e32 v31, v40, v31
	v_fma_f16 v33, v33, 2.0, -v29
	v_fma_f16 v36, v36, 2.0, -v39
	;; [unrolled: 1-line block ×3, first 2 shown]
	v_sub_f16_e32 v43, v29, v43
	v_add_f16_e32 v39, v47, v39
	v_fma_f16 v51, v52, 2.0, -v47
	v_fma_f16 v37, v37, 2.0, -v34
	;; [unrolled: 1-line block ×3, first 2 shown]
	v_sub_f16_e32 v44, v30, v44
	v_add_f16_e32 v34, v48, v34
	v_fma_f16 v26, v26, 2.0, -v30
	v_fma_f16 v54, v54, 2.0, -v48
	v_sub_f16_e32 v27, v32, v27
	v_sub_f16_e32 v49, v45, v49
	v_pack_b32_f16 v124, v46, v31
	v_fma_f16 v28, v28, 2.0, -v46
	v_fma_f16 v31, v40, 2.0, -v31
	;; [unrolled: 1-line block ×4, first 2 shown]
	v_pack_b32_f16 v39, v43, v39
	v_fma_f16 v30, v30, 2.0, -v44
	v_fma_f16 v43, v48, 2.0, -v34
	v_pack_b32_f16 v34, v44, v34
	v_sub_f16_e32 v36, v33, v36
	v_sub_f16_e32 v44, v51, v50
	;; [unrolled: 1-line block ×4, first 2 shown]
	v_pack_b32_f16 v47, v27, v49
	v_fma_f16 v27, v32, 2.0, -v27
	v_fma_f16 v32, v45, 2.0, -v49
	v_pack_b32_f16 v28, v28, v31
	v_fma_f16 v31, v33, 2.0, -v36
	v_fma_f16 v33, v51, 2.0, -v44
	;; [unrolled: 3-line block ×3, first 2 shown]
	v_pack_b32_f16 v27, v27, v32
	v_pack_b32_f16 v31, v31, v33
	;; [unrolled: 1-line block ×6, first 2 shown]
	ds_store_2addr_b32 v114, v47, v124 offset0:32 offset1:176
	ds_store_2addr_b32 v109, v27, v28 offset1:144
	ds_store_2addr_b32 v111, v31, v29 offset1:144
	ds_store_2addr_b32 v113, v36, v39 offset0:32 offset1:176
	ds_store_2addr_b32 v110, v26, v30 offset1:144
	ds_store_2addr_b32 v112, v32, v34 offset0:32 offset1:176
	global_wb scope:SCOPE_SE
	s_wait_dscnt 0x0
	s_barrier_signal -1
	s_barrier_wait -1
	global_inv scope:SCOPE_SE
	s_clause 0x2
	global_load_b96 v[26:28], v[41:42], off offset:2280
	global_load_b96 v[29:31], v[41:42], off offset:4584
	global_load_b96 v[32:34], v[41:42], off offset:6888
	ds_load_2addr_stride64_b32 v[36:37], v57 offset0:18 offset1:21
	ds_load_2addr_stride64_b32 v[39:40], v57 offset0:24 offset1:27
	;; [unrolled: 1-line block ×4, first 2 shown]
	s_wait_dscnt 0x3
	v_lshrrev_b32_e32 v45, 16, v36
	v_lshrrev_b32_e32 v46, 16, v37
	s_wait_dscnt 0x2
	v_lshrrev_b32_e32 v47, 16, v40
	s_wait_dscnt 0x1
	v_lshrrev_b32_e32 v48, 16, v41
	v_lshrrev_b32_e32 v50, 16, v42
	;; [unrolled: 1-line block ×3, first 2 shown]
	s_wait_dscnt 0x0
	v_lshrrev_b32_e32 v49, 16, v43
	v_lshrrev_b32_e32 v52, 16, v44
	s_wait_loadcnt 0x2
	v_lshrrev_b32_e32 v130, 16, v27
	s_wait_loadcnt 0x1
	v_lshrrev_b32_e32 v126, 16, v30
	v_lshrrev_b32_e32 v131, 16, v28
	;; [unrolled: 1-line block ×3, first 2 shown]
	s_wait_loadcnt 0x0
	v_lshrrev_b32_e32 v127, 16, v32
	v_lshrrev_b32_e32 v125, 16, v33
	v_mul_f16_e64 v54, v45, v130
	v_lshrrev_b32_e32 v128, 16, v31
	v_lshrrev_b32_e32 v124, 16, v34
	v_mul_f16_e64 v132, v46, v126
	v_mul_f16_e64 v133, v36, v130
	;; [unrolled: 1-line block ×5, first 2 shown]
	v_fma_f16 v54, v36, v27, -v54
	v_mul_f16_e32 v36, v51, v125
	v_mul_f16_e64 v134, v37, v126
	v_mul_f16_e64 v135, v40, v131
	v_fma_f16 v132, v37, v30, -v132
	v_mul_f16_e64 v139, v41, v129
	v_fma_f16 v41, v41, v29, -v137
	v_fma_f16 v137, v42, v32, -v138
	v_mul_f16_e64 v138, v39, v125
	v_fma_f16 v136, v40, v28, -v136
	v_fma_f16 v140, v39, v33, -v36
	ds_load_2addr_stride64_b32 v[36:37], v57 offset1:3
	v_mul_f16_e64 v39, v49, v128
	v_mul_f16_e32 v40, v52, v124
	v_fmac_f16_e64 v133, v45, v27
	v_fmac_f16_e64 v134, v46, v30
	v_mul_f16_e64 v45, v43, v128
	v_mul_f16_e32 v46, v44, v124
	v_fma_f16 v43, v43, v31, -v39
	v_fma_f16 v44, v44, v34, -v40
	ds_load_2addr_stride64_b32 v[39:40], v57 offset0:6 offset1:9
	v_mul_f16_e32 v42, v42, v127
	v_fmac_f16_e64 v138, v51, v33
	v_fmac_f16_e32 v46, v52, v34
	v_fmac_f16_e64 v135, v47, v28
	v_fmac_f16_e32 v45, v49, v31
	v_fmac_f16_e32 v42, v50, v32
	v_fmac_f16_e64 v139, v48, v29
	v_sub_f16_e32 v43, v41, v43
	v_sub_f16_e64 v44, v137, v44
	s_wait_dscnt 0x1
	v_sub_f16_e64 v50, v37, v132
	v_lshrrev_b32_e32 v132, 16, v26
	v_lshrrev_b32_e32 v47, 16, v36
	v_sub_f16_e32 v49, v36, v54
	v_lshrrev_b32_e32 v48, 16, v37
	v_sub_f16_e64 v45, v139, v45
	v_sub_f16_e32 v46, v42, v46
	v_sub_f16_e64 v133, v47, v133
	v_fma_f16 v36, v36, 2.0, -v49
	s_wait_dscnt 0x0
	v_lshrrev_b32_e32 v51, 16, v40
	v_mul_f16_e64 v52, v40, v132
	v_sub_f16_e64 v134, v48, v134
	v_sub_f16_e64 v54, v39, v140
	v_fma_f16 v47, v47, 2.0, -v133
	v_fma_f16 v37, v37, 2.0, -v50
	v_fmac_f16_e32 v52, v51, v26
	v_mul_f16_e64 v51, v51, v132
	v_fma_f16 v48, v48, 2.0, -v134
	v_fma_f16 v41, v41, 2.0, -v43
	v_add_f16_e64 v43, v134, v43
	v_sub_f16_e64 v135, v52, v135
	v_fma_f16 v40, v40, v26, -v51
	v_lshrrev_b32_e32 v51, 16, v39
	v_fma_f16 v39, v39, 2.0, -v54
	v_fma_f16 v42, v42, 2.0, -v46
	;; [unrolled: 1-line block ×3, first 2 shown]
	v_sub_f16_e64 v136, v40, v136
	v_sub_f16_e64 v135, v49, v135
	v_sub_f16_e32 v46, v54, v46
	v_fma_f16 v137, v137, 2.0, -v44
	v_sub_f16_e32 v52, v47, v52
	v_fma_f16 v40, v40, 2.0, -v136
	v_add_f16_e64 v136, v133, v136
	v_fma_f16 v49, v49, 2.0, -v135
	v_sub_f16_e32 v41, v37, v41
	v_fma_f16 v134, v134, 2.0, -v43
	v_sub_f16_e32 v40, v36, v40
	v_fma_f16 v133, v133, 2.0, -v136
	v_pack_b32_f16 v135, v135, v136
	v_sub_f16_e64 v136, v51, v138
	v_fma_f16 v138, v139, 2.0, -v45
	v_sub_f16_e32 v45, v50, v45
	v_fma_f16 v36, v36, 2.0, -v40
	v_fma_f16 v47, v47, 2.0, -v52
	v_add_f16_e64 v44, v136, v44
	v_fma_f16 v51, v51, 2.0, -v136
	v_sub_f16_e64 v138, v48, v138
	v_fma_f16 v50, v50, 2.0, -v45
	v_pack_b32_f16 v43, v45, v43
	v_fma_f16 v45, v54, 2.0, -v46
	v_fma_f16 v54, v136, 2.0, -v44
	v_sub_f16_e64 v136, v39, v137
	v_sub_f16_e32 v42, v51, v42
	v_fma_f16 v37, v37, 2.0, -v41
	v_fma_f16 v48, v48, 2.0, -v138
	v_pack_b32_f16 v44, v46, v44
	v_pack_b32_f16 v46, v49, v133
	v_pack_b32_f16 v49, v50, v134
	v_pack_b32_f16 v50, v136, v42
	v_fma_f16 v39, v39, 2.0, -v136
	v_fma_f16 v42, v51, 2.0, -v42
	v_pack_b32_f16 v36, v36, v47
	v_pack_b32_f16 v37, v37, v48
	;; [unrolled: 1-line block ×6, first 2 shown]
	ds_store_b32 v57, v46 offset:2304
	ds_store_b32 v57, v135 offset:6912
	;; [unrolled: 1-line block ×3, first 2 shown]
	ds_store_2addr_stride64_b32 v57, v36, v37 offset1:3
	ds_store_b32 v57, v43 offset:7680
	ds_store_2addr_stride64_b32 v57, v49, v45 offset0:12 offset1:15
	ds_store_2addr_stride64_b32 v57, v41, v50 offset0:21 offset1:24
	ds_store_b32 v57, v39 offset:1536
	ds_store_b32 v57, v44 offset:8448
	global_wb scope:SCOPE_SE
	s_wait_dscnt 0x0
	s_barrier_signal -1
	s_barrier_wait -1
	global_inv scope:SCOPE_SE
	s_clause 0xb
	global_load_b32 v39, v57, s[8:9] offset:9216
	global_load_b32 v43, v57, s[2:3] offset:768
	global_load_b32 v44, v57, s[2:3] offset:1536
	global_load_b32 v45, v57, s[2:3] offset:2304
	global_load_b32 v46, v57, s[2:3] offset:3072
	global_load_b32 v47, v57, s[2:3] offset:3840
	global_load_b32 v48, v57, s[2:3] offset:4608
	global_load_b32 v49, v57, s[2:3] offset:5376
	global_load_b32 v50, v57, s[2:3] offset:6144
	global_load_b32 v51, v57, s[2:3] offset:6912
	global_load_b32 v52, v57, s[2:3] offset:7680
	global_load_b32 v54, v57, s[2:3] offset:8448
	ds_load_2addr_stride64_b32 v[36:37], v57 offset1:3
	s_mul_u64 s[2:3], s[4:5], 0x600
	s_wait_dscnt 0x0
	v_lshrrev_b32_e32 v41, 16, v36
	s_wait_loadcnt 0xa
	v_lshrrev_b32_e32 v133, 16, v43
	s_wait_loadcnt 0x9
	v_lshrrev_b32_e32 v135, 16, v44
	s_wait_loadcnt 0x8
	v_lshrrev_b32_e32 v136, 16, v45
	v_lshrrev_b32_e32 v40, 16, v39
	s_delay_alu instid0(VALU_DEP_1) | instskip(SKIP_1) | instid1(VALU_DEP_2)
	v_mul_f16_e32 v42, v36, v40
	v_mul_f16_e32 v40, v41, v40
	v_fmac_f16_e32 v42, v41, v39
	s_delay_alu instid0(VALU_DEP_2) | instskip(NEXT) | instid1(VALU_DEP_1)
	v_fma_f16 v36, v36, v39, -v40
	v_pack_b32_f16 v36, v36, v42
	ds_store_b32 v57, v36
	ds_load_2addr_stride64_b32 v[39:40], v57 offset0:6 offset1:9
	v_lshrrev_b32_e32 v36, 16, v37
	ds_load_2addr_stride64_b32 v[41:42], v57 offset0:12 offset1:15
	v_mul_f16_e64 v134, v36, v133
	v_mul_f16_e64 v133, v37, v133
	s_delay_alu instid0(VALU_DEP_2) | instskip(NEXT) | instid1(VALU_DEP_2)
	v_fma_f16 v134, v37, v43, -v134
	v_fmac_f16_e64 v133, v36, v43
	s_delay_alu instid0(VALU_DEP_1) | instskip(SKIP_4) | instid1(VALU_DEP_3)
	v_pack_b32_f16 v133, v134, v133
	s_wait_dscnt 0x1
	v_lshrrev_b32_e32 v37, 16, v39
	v_mul_f16_e64 v137, v39, v135
	v_lshrrev_b32_e32 v138, 16, v40
	v_mul_f16_e64 v43, v37, v135
	s_delay_alu instid0(VALU_DEP_3) | instskip(NEXT) | instid1(VALU_DEP_3)
	v_fmac_f16_e64 v137, v37, v44
	v_mul_f16_e64 v135, v138, v136
	ds_load_2addr_stride64_b32 v[36:37], v57 offset0:18 offset1:21
	v_mul_f16_e64 v136, v40, v136
	v_fma_f16 v39, v39, v44, -v43
	s_wait_loadcnt 0x7
	v_lshrrev_b32_e32 v43, 16, v46
	v_fma_f16 v40, v40, v45, -v135
	s_wait_dscnt 0x1
	v_lshrrev_b32_e32 v135, 16, v41
	s_wait_loadcnt 0x6
	v_lshrrev_b32_e32 v44, 16, v47
	v_fmac_f16_e64 v136, v138, v45
	v_mul_f16_e32 v45, v41, v43
	v_lshrrev_b32_e32 v138, 16, v42
	v_mul_f16_e64 v43, v135, v43
	v_pack_b32_f16 v39, v39, v137
	v_pack_b32_f16 v40, v40, v136
	v_fmac_f16_e64 v45, v135, v46
	v_mul_f16_e64 v135, v138, v44
	v_mul_f16_e32 v44, v42, v44
	v_fma_f16 v41, v41, v46, -v43
	s_wait_loadcnt 0x5
	v_lshrrev_b32_e32 v43, 16, v48
	s_wait_loadcnt 0x4
	v_lshrrev_b32_e32 v46, 16, v49
	v_fma_f16 v42, v42, v47, -v135
	s_wait_dscnt 0x0
	v_lshrrev_b32_e32 v135, 16, v36
	v_fmac_f16_e64 v44, v138, v47
	v_mul_f16_e32 v47, v36, v43
	v_lshrrev_b32_e32 v138, 16, v37
	v_pack_b32_f16 v41, v41, v45
	v_mul_f16_e64 v43, v135, v43
	v_pack_b32_f16 v42, v42, v44
	v_fmac_f16_e64 v47, v135, v48
	v_mul_f16_e64 v135, v138, v46
	v_mul_f16_e32 v46, v37, v46
	v_fma_f16 v43, v36, v48, -v43
	s_delay_alu instid0(VALU_DEP_3)
	v_fma_f16 v48, v37, v49, -v135
	ds_load_2addr_stride64_b32 v[36:37], v57 offset0:24 offset1:27
	s_wait_loadcnt 0x3
	v_lshrrev_b32_e32 v135, 16, v50
	v_fmac_f16_e64 v46, v138, v49
	v_pack_b32_f16 v43, v43, v47
	s_delay_alu instid0(VALU_DEP_2) | instskip(SKIP_4) | instid1(VALU_DEP_3)
	v_pack_b32_f16 v45, v48, v46
	s_wait_dscnt 0x0
	v_lshrrev_b32_e32 v49, 16, v36
	v_mul_f16_e64 v138, v36, v135
	v_lshrrev_b32_e32 v139, 16, v37
	v_mul_f16_e64 v135, v49, v135
	s_delay_alu instid0(VALU_DEP_3) | instskip(SKIP_2) | instid1(VALU_DEP_3)
	v_fmac_f16_e64 v138, v49, v50
	s_wait_loadcnt 0x2
	v_lshrrev_b32_e32 v49, 16, v51
	v_fma_f16 v50, v36, v50, -v135
	s_delay_alu instid0(VALU_DEP_2) | instskip(SKIP_1) | instid1(VALU_DEP_3)
	v_mul_f16_e64 v140, v37, v49
	v_mul_f16_e64 v49, v139, v49
	v_pack_b32_f16 v44, v50, v138
	s_delay_alu instid0(VALU_DEP_3) | instskip(NEXT) | instid1(VALU_DEP_3)
	v_fmac_f16_e64 v140, v139, v51
	v_fma_f16 v49, v37, v51, -v49
	ds_load_2addr_stride64_b32 v[36:37], v57 offset0:30 offset1:33
	s_wait_loadcnt 0x1
	v_lshrrev_b32_e32 v51, 16, v52
	v_pack_b32_f16 v46, v49, v140
	s_wait_dscnt 0x0
	v_lshrrev_b32_e32 v135, 16, v36
	s_delay_alu instid0(VALU_DEP_3) | instskip(NEXT) | instid1(VALU_DEP_2)
	v_mul_f16_e64 v139, v36, v51
	v_mul_f16_e64 v51, v135, v51
	s_delay_alu instid0(VALU_DEP_2) | instskip(NEXT) | instid1(VALU_DEP_2)
	v_fmac_f16_e64 v139, v135, v52
	v_fma_f16 v36, v36, v52, -v51
	s_wait_loadcnt 0x0
	v_lshrrev_b32_e32 v51, 16, v54
	v_lshrrev_b32_e32 v52, 16, v37
	s_delay_alu instid0(VALU_DEP_3) | instskip(NEXT) | instid1(VALU_DEP_2)
	v_pack_b32_f16 v36, v36, v139
	v_mul_f16_e64 v135, v52, v51
	v_mul_f16_e32 v51, v37, v51
	s_delay_alu instid0(VALU_DEP_2) | instskip(NEXT) | instid1(VALU_DEP_2)
	v_fma_f16 v37, v37, v54, -v135
	v_fmac_f16_e32 v51, v52, v54
	s_delay_alu instid0(VALU_DEP_1)
	v_pack_b32_f16 v37, v37, v51
	ds_store_2addr_stride64_b32 v57, v133, v39 offset0:3 offset1:6
	ds_store_2addr_stride64_b32 v57, v40, v41 offset0:9 offset1:12
	;; [unrolled: 1-line block ×5, first 2 shown]
	ds_store_b32 v57, v37 offset:8448
	global_wb scope:SCOPE_SE
	s_wait_dscnt 0x0
	s_barrier_signal -1
	s_barrier_wait -1
	global_inv scope:SCOPE_SE
	ds_load_2addr_stride64_b32 v[43:44], v57 offset0:18 offset1:21
	ds_load_2addr_stride64_b32 v[36:37], v57 offset0:30 offset1:33
	;; [unrolled: 1-line block ×4, first 2 shown]
	ds_load_2addr_stride64_b32 v[45:46], v57 offset1:3
	ds_load_2addr_stride64_b32 v[47:48], v57 offset0:6 offset1:9
	v_mad_co_u64_u32 v[41:42], null, s6, v35, 0
	global_wb scope:SCOPE_SE
	s_wait_dscnt 0x0
	s_barrier_signal -1
	s_barrier_wait -1
	global_inv scope:SCOPE_SE
	v_mad_co_u64_u32 v[39:40], null, s4, v108, 0
	s_mul_i32 s6, s5, 0xc00
	v_pk_add_f16 v54, v43, v36
	v_pk_add_f16 v133, v43, v36 neg_lo:[0,1] neg_hi:[0,1]
	v_pk_add_f16 v134, v51, v49
	v_pk_add_f16 v135, v51, v49 neg_lo:[0,1] neg_hi:[0,1]
	v_pk_add_f16 v51, v45, v51
	v_pk_add_f16 v136, v46, v52
	;; [unrolled: 1-line block ×3, first 2 shown]
	v_pk_add_f16 v52, v52, v50 neg_lo:[0,1] neg_hi:[0,1]
	v_pk_add_f16 v43, v47, v43
	v_pk_add_f16 v49, v51, v49
	;; [unrolled: 1-line block ×5, first 2 shown]
	v_pk_fma_f16 v47, v54, 0.5, v47 op_sel_hi:[1,0,1] neg_lo:[1,0,0] neg_hi:[1,0,0]
	v_pk_add_f16 v44, v44, v37 neg_lo:[0,1] neg_hi:[0,1]
	v_pk_fma_f16 v45, v134, 0.5, v45 op_sel_hi:[1,0,1] neg_lo:[1,0,0] neg_hi:[1,0,0]
	v_pk_add_f16 v43, v43, v36
	v_pk_fma_f16 v36, v137, 0.5, v46 op_sel_hi:[1,0,1] neg_lo:[1,0,0] neg_hi:[1,0,0]
	v_pk_fma_f16 v46, v51, 0.5, v48 op_sel_hi:[1,0,1] neg_lo:[1,0,0] neg_hi:[1,0,0]
	v_pk_add_f16 v51, v136, v37
	v_pk_fma_f16 v37, 0x3aee, v133, v47 op_sel:[0,0,1] op_sel_hi:[0,1,0]
	v_pk_fma_f16 v47, 0x3aee, v133, v47 op_sel:[0,0,1] op_sel_hi:[0,1,0] neg_lo:[0,1,0] neg_hi:[0,1,0]
	v_pk_fma_f16 v48, 0x3aee, v135, v45 op_sel:[0,0,1] op_sel_hi:[0,1,0] neg_lo:[0,1,0] neg_hi:[0,1,0]
	v_pk_fma_f16 v54, 0x3aee, v135, v45 op_sel:[0,0,1] op_sel_hi:[0,1,0]
	v_pk_fma_f16 v45, 0x3aee, v44, v46 op_sel:[0,0,1] op_sel_hi:[0,1,0] neg_lo:[0,1,0] neg_hi:[0,1,0]
	v_pk_fma_f16 v44, 0x3aee, v44, v46 op_sel:[0,0,1] op_sel_hi:[0,1,0]
	;; [unrolled: 2-line block ×3, first 2 shown]
	v_lshrrev_b32_e32 v36, 16, v47
	v_mul_f16_e64 v133, 0xbaee, v37
	v_pk_mul_f16 v134, 0x3aee, v47 op_sel_hi:[0,1]
	v_lshrrev_b32_e32 v135, 16, v37
	v_mul_f16_e32 v47, -0.5, v47
	v_lshrrev_b32_e32 v136, 16, v48
	v_lshrrev_b32_e32 v137, 16, v45
	v_mul_f16_e64 v138, 0xbaee, v44
	v_fmac_f16_e64 v133, 0.5, v36
	v_pk_fma_f16 v36, 0xb8003800, v37, v134 op_sel:[0,0,1] op_sel_hi:[1,1,0]
	v_pk_fma_f16 v37, 0xb8003800, v37, v134 op_sel:[0,0,1] op_sel_hi:[1,1,0] neg_lo:[0,0,1] neg_hi:[0,0,1]
	v_pk_mul_f16 v134, 0x3aee, v45 op_sel_hi:[0,1]
	v_fmac_f16_e64 v47, 0x3aee, v135
	v_lshrrev_b32_e32 v135, 16, v44
	v_mul_f16_e64 v139, -0.5, v45
	v_fmac_f16_e64 v138, 0.5, v137
	v_pk_fma_f16 v137, 0xb8003800, v44, v134 op_sel:[0,0,1] op_sel_hi:[1,1,0]
	v_pk_fma_f16 v134, 0xb8003800, v44, v134 op_sel:[0,0,1] op_sel_hi:[1,1,0] neg_lo:[0,0,1] neg_hi:[0,0,1]
	v_alignbit_b32 v44, v54, v48, 16
	v_fmac_f16_e64 v139, 0x3aee, v135
	v_alignbit_b32 v45, v48, v54, 16
	v_add_f16_e64 v135, v136, v133
	v_pack_b32_f16 v133, v133, v36
	v_bfi_b32 v136, 0xffff, v36, v37
	v_alignbit_b32 v37, v47, v37, 16
	v_add_f16_e32 v47, v48, v47
	v_lshrrev_b32_e32 v48, 16, v46
	v_pk_add_f16 v36, v44, v133 neg_lo:[0,1] neg_hi:[0,1]
	v_pk_add_f16 v44, v49, v43 neg_lo:[0,1] neg_hi:[0,1]
	;; [unrolled: 1-line block ×3, first 2 shown]
	v_pk_add_f16 v45, v49, v43
	v_bfi_b32 v43, 0xffff, v137, v134
	v_pk_add_f16 v54, v54, v136
	v_add_f16_e64 v133, v48, v138
	v_pack_b32_f16 v138, v138, v137
	v_alignbit_b32 v136, v52, v46, 16
	v_alignbit_b32 v134, v139, v134, 16
	v_add_f16_e64 v137, v46, v139
	v_alignbit_b32 v139, v46, v52, 16
	v_pk_add_f16 v52, v52, v43
	v_alignbit_b32 v43, v47, v54, 16
	v_pack_b32_f16 v46, v135, v54
	v_pk_add_f16 v48, v50, v51 neg_lo:[0,1] neg_hi:[0,1]
	v_pk_add_f16 v49, v50, v51
	v_alignbit_b32 v47, v137, v52, 16
	v_pack_b32_f16 v50, v133, v52
	v_pk_add_f16 v51, v136, v138 neg_lo:[0,1] neg_hi:[0,1]
	v_pk_add_f16 v52, v139, v134 neg_lo:[0,1] neg_hi:[0,1]
	ds_store_2addr_b64 v38, v[45:46], v[43:44] offset1:1
	ds_store_b64 v38, v[36:37] offset:16
	ds_store_2addr_b64 v53, v[49:50], v[47:48] offset1:1
	ds_store_b64 v53, v[51:52] offset:16
	global_wb scope:SCOPE_SE
	s_wait_dscnt 0x0
	s_barrier_signal -1
	s_barrier_wait -1
	global_inv scope:SCOPE_SE
	ds_load_2addr_stride64_b32 v[47:48], v57 offset0:6 offset1:9
	ds_load_2addr_stride64_b32 v[43:44], v57 offset0:12 offset1:15
	ds_load_2addr_stride64_b32 v[49:50], v57 offset0:18 offset1:21
	ds_load_2addr_stride64_b32 v[51:52], v57 offset0:24 offset1:27
	v_mov_b32_e32 v36, v42
	v_mad_co_u64_u32 v[45:46], null, s5, v108, v[40:41]
	s_delay_alu instid0(VALU_DEP_2) | instskip(SKIP_2) | instid1(VALU_DEP_3)
	v_mad_co_u64_u32 v[53:54], null, s7, v35, v[36:37]
	v_mad_co_u64_u32 v[37:38], null, s4, v69, 0
	;; [unrolled: 1-line block ×3, first 2 shown]
	v_mov_b32_e32 v42, v53
	ds_load_2addr_stride64_b32 v[53:54], v57 offset0:30 offset1:33
	ds_load_2addr_stride64_b32 v[133:134], v57 offset1:3
	global_wb scope:SCOPE_SE
	s_wait_dscnt 0x0
	s_barrier_signal -1
	v_lshrrev_b32_e32 v40, 16, v47
	v_mul_f16_e32 v46, v98, v47
	v_lshrrev_b32_e32 v108, 16, v43
	v_mul_f16_e64 v135, v97, v43
	v_lshrrev_b32_e32 v136, 16, v49
	v_mul_f16_e64 v137, v96, v49
	v_mul_f16_e32 v98, v98, v40
	v_fma_f16 v40, v4, v40, -v46
	v_lshrrev_b32_e32 v46, 16, v51
	v_mul_f16_e32 v97, v97, v108
	v_fma_f16 v108, v5, v108, -v135
	v_mul_f16_e64 v135, v95, v51
	v_mul_f16_e64 v96, v96, v136
	v_fma_f16 v136, v6, v136, -v137
	v_lshrrev_b32_e32 v137, 16, v48
	v_mul_f16_e32 v95, v95, v46
	v_fma_f16 v46, v7, v46, -v135
	v_mul_f16_e64 v135, v94, v48
	v_fmac_f16_e32 v98, v4, v47
	v_mul_f16_e64 v94, v94, v137
	v_fmac_f16_e32 v97, v5, v43
	v_fmac_f16_e32 v96, v6, v49
	v_fmac_f16_e32 v95, v7, v51
	v_lshrrev_b32_e32 v4, 16, v44
	v_mul_f16_e32 v5, v93, v44
	v_lshrrev_b32_e32 v6, 16, v50
	v_mul_f16_e32 v7, v92, v50
	;; [unrolled: 2-line block ×3, first 2 shown]
	v_fmac_f16_e32 v94, v0, v48
	v_lshrrev_b32_e32 v48, 16, v53
	v_mul_f16_e32 v49, v93, v4
	v_fma_f16 v4, v1, v4, -v5
	v_mul_f16_e32 v5, v89, v53
	v_mul_f16_e32 v51, v92, v6
	v_fma_f16 v6, v2, v6, -v7
	v_lshrrev_b32_e32 v7, 16, v54
	v_mul_f16_e32 v91, v91, v43
	v_fma_f16 v43, v3, v43, -v47
	v_mul_f16_e32 v47, v90, v54
	v_fma_f16 v0, v0, v137, -v135
	;; [unrolled: 2-line block ×3, first 2 shown]
	v_lshrrev_b32_e32 v48, 16, v133
	v_mul_f16_e32 v90, v90, v7
	v_fma_f16 v7, v83, v7, -v47
	v_lshrrev_b32_e32 v47, 16, v134
	v_fmac_f16_e32 v49, v1, v44
	v_fmac_f16_e32 v51, v2, v50
	;; [unrolled: 1-line block ×5, first 2 shown]
	v_add_f16_e32 v1, v48, v108
	v_add_f16_e32 v2, v108, v46
	v_add_f16_e64 v44, v40, v136
	v_add_f16_e64 v50, v136, v5
	v_add_f16_e32 v53, v6, v7
	v_add_f16_e32 v54, v0, v6
	v_sub_f16_e32 v82, v4, v43
	v_add_f16_e32 v83, v47, v4
	v_add_f16_e32 v4, v4, v43
	v_sub_f16_e32 v3, v108, v46
	v_sub_f16_e64 v52, v136, v5
	v_sub_f16_e32 v6, v6, v7
	v_add_f16_e32 v1, v1, v46
	v_fmac_f16_e32 v48, -0.5, v2
	v_add_f16_e32 v2, v44, v5
	v_fmac_f16_e32 v40, -0.5, v50
	v_fmac_f16_e32 v0, -0.5, v53
	v_add_f16_e32 v5, v49, v91
	v_add_f16_e64 v44, v134, v49
	v_add_f16_e32 v46, v51, v90
	v_add_f16_e32 v50, v94, v51
	v_sub_f16_e32 v51, v51, v90
	v_add_f16_e32 v53, v97, v95
	v_add_f16_e64 v92, v133, v97
	v_add_f16_e32 v43, v83, v43
	v_fmac_f16_e32 v47, -0.5, v4
	v_add_f16_e32 v4, v54, v7
	v_sub_f16_e32 v7, v97, v95
	v_add_f16_e32 v54, v98, v96
	v_add_f16_e32 v83, v96, v89
	v_sub_f16_e32 v93, v96, v89
	v_fmac_f16_e64 v134, -0.5, v5
	v_fmac_f16_e32 v94, -0.5, v46
	v_fmamk_f16 v5, v51, 0x3aee, v0
	v_fmac_f16_e32 v0, 0xbaee, v51
	v_fma_f16 v46, -0.5, v53, v133
	v_add_f16_e32 v51, v92, v95
	v_add_f16_e32 v53, v54, v89
	v_fmac_f16_e32 v98, -0.5, v83
	v_fmamk_f16 v54, v7, 0x3aee, v48
	v_fmac_f16_e32 v48, 0xbaee, v7
	v_fmamk_f16 v7, v93, 0x3aee, v40
	v_add_f16_e32 v83, v1, v2
	v_sub_f16_e32 v1, v1, v2
	v_add_f16_e32 v2, v44, v91
	v_add_f16_e32 v44, v50, v90
	v_fmac_f16_e32 v40, 0xbaee, v93
	v_sub_f16_e32 v49, v49, v91
	v_fmamk_f16 v89, v3, 0xbaee, v46
	v_fmac_f16_e32 v46, 0x3aee, v3
	v_fmamk_f16 v3, v52, 0xbaee, v98
	v_fmac_f16_e32 v98, 0x3aee, v52
	v_add_f16_e32 v52, v51, v53
	v_sub_f16_e32 v51, v51, v53
	v_add_f16_e32 v53, v2, v44
	v_sub_f16_e32 v2, v2, v44
	v_mul_f16_e32 v44, 0xbaee, v7
	v_mul_f16_e32 v7, 0.5, v7
	v_mul_f16_e32 v90, 0xbaee, v40
	v_mul_f16_e32 v40, -0.5, v40
	v_fmamk_f16 v50, v49, 0x3aee, v47
	v_fmac_f16_e32 v47, 0xbaee, v49
	v_add_f16_e32 v49, v43, v4
	v_sub_f16_e32 v4, v43, v4
	v_fma_f16 v43, 0xbaee, v82, v134
	v_fmac_f16_e64 v134, 0x3aee, v82
	v_fmamk_f16 v82, v6, 0xbaee, v94
	v_mul_f16_e32 v91, 0xbaee, v5
	v_mul_f16_e32 v5, 0.5, v5
	v_fmac_f16_e32 v94, 0x3aee, v6
	v_mul_f16_e32 v6, 0xbaee, v0
	v_mul_f16_e32 v0, -0.5, v0
	v_fmac_f16_e32 v44, 0.5, v3
	v_fmac_f16_e32 v7, 0x3aee, v3
	v_fmac_f16_e32 v90, -0.5, v98
	v_fmac_f16_e32 v40, 0x3aee, v98
	v_fmac_f16_e32 v91, 0.5, v82
	v_fmac_f16_e32 v5, 0x3aee, v82
	v_fmac_f16_e32 v6, -0.5, v94
	v_fmac_f16_e32 v0, 0x3aee, v94
	v_pack_b32_f16 v1, v51, v1
	v_pack_b32_f16 v49, v53, v49
	v_add_f16_e32 v51, v89, v44
	v_add_f16_e32 v53, v54, v7
	v_pack_b32_f16 v3, v52, v83
	v_add_f16_e32 v52, v46, v90
	v_sub_f16_e32 v7, v54, v7
	v_add_f16_e32 v54, v48, v40
	v_sub_f16_e32 v44, v89, v44
	v_sub_f16_e32 v46, v46, v90
	;; [unrolled: 1-line block ×3, first 2 shown]
	v_add_f16_e32 v48, v43, v91
	v_add_f16_e32 v82, v50, v5
	v_pack_b32_f16 v2, v2, v4
	v_add_f16_e64 v4, v134, v6
	v_sub_f16_e32 v5, v50, v5
	v_add_f16_e32 v50, v47, v0
	v_sub_f16_e64 v6, v134, v6
	v_sub_f16_e32 v43, v43, v91
	v_sub_f16_e32 v0, v47, v0
	v_pack_b32_f16 v47, v51, v53
	v_pack_b32_f16 v51, v52, v54
	;; [unrolled: 1-line block ×6, first 2 shown]
	s_barrier_wait -1
	global_inv scope:SCOPE_SE
	v_pack_b32_f16 v5, v43, v5
	v_pack_b32_f16 v0, v6, v0
	ds_store_2addr_b32 v84, v3, v47 offset1:6
	ds_store_2addr_b32 v84, v51, v1 offset0:12 offset1:18
	ds_store_2addr_b32 v84, v7, v40 offset0:24 offset1:30
	ds_store_2addr_b32 v85, v49, v44 offset1:6
	ds_store_2addr_b32 v85, v4, v2 offset0:12 offset1:18
	ds_store_2addr_b32 v85, v5, v0 offset0:24 offset1:30
	v_lshlrev_b64_e32 v[6:7], 2, v[41:42]
	v_mov_b32_e32 v40, v45
	global_wb scope:SCOPE_SE
	s_wait_dscnt 0x0
	s_barrier_signal -1
	s_barrier_wait -1
	global_inv scope:SCOPE_SE
	v_add_co_u32 v45, vcc_lo, s0, v6
	ds_load_2addr_stride64_b32 v[2:3], v57 offset0:12 offset1:15
	ds_load_2addr_stride64_b32 v[0:1], v57 offset0:18 offset1:21
	;; [unrolled: 1-line block ×4, first 2 shown]
	s_wait_alu 0xfffd
	v_add_co_ci_u32_e32 v46, vcc_lo, s1, v7, vcc_lo
	ds_load_2addr_stride64_b32 v[6:7], v57 offset0:6 offset1:9
	ds_load_2addr_stride64_b32 v[43:44], v57 offset1:3
	global_wb scope:SCOPE_SE
	s_wait_dscnt 0x0
	s_barrier_signal -1
	s_barrier_wait -1
	global_inv scope:SCOPE_SE
	v_lshlrev_b64_e32 v[39:40], 2, v[39:40]
	s_mov_b32 s0, 0x1c71c71c
	s_mov_b32 s1, 0x3f3c71c7
	v_lshrrev_b32_e32 v47, 16, v2
	v_mul_f16_e32 v48, v107, v2
	v_lshrrev_b32_e32 v49, 16, v1
	v_mul_f16_e32 v50, v104, v1
	;; [unrolled: 2-line block ×3, first 2 shown]
	v_lshrrev_b32_e32 v53, 16, v3
	v_lshrrev_b32_e32 v54, 16, v5
	v_mul_f16_e32 v82, v103, v3
	v_mul_f16_e32 v83, v105, v5
	v_lshrrev_b32_e32 v84, 16, v41
	v_mul_f16_e32 v85, v102, v41
	v_lshrrev_b32_e32 v89, 16, v0
	v_lshrrev_b32_e32 v91, 16, v42
	;; [unrolled: 1-line block ×3, first 2 shown]
	v_mul_f16_e32 v90, v99, v0
	v_mul_f16_e32 v92, v100, v42
	;; [unrolled: 1-line block ×4, first 2 shown]
	v_fma_f16 v47, v11, v47, -v48
	v_mul_f16_e32 v48, v104, v49
	v_fma_f16 v49, v12, v49, -v50
	v_mul_f16_e32 v50, v106, v51
	;; [unrolled: 2-line block ×3, first 2 shown]
	v_mul_f16_e32 v103, v105, v54
	v_fma_f16 v53, v14, v53, -v82
	v_mul_f16_e32 v82, v102, v84
	v_fma_f16 v84, v15, v84, -v85
	v_fma_f16 v54, v16, v54, -v83
	v_mul_f16_e32 v83, v99, v89
	v_mul_f16_e32 v85, v100, v91
	;; [unrolled: 1-line block ×3, first 2 shown]
	v_lshrrev_b32_e32 v95, 16, v43
	v_fma_f16 v93, v8, v93, -v94
	v_fma_f16 v91, v10, v91, -v92
	v_fma_f16 v89, v9, v89, -v90
	v_fmac_f16_e32 v83, v9, v0
	v_fmac_f16_e32 v85, v10, v42
	;; [unrolled: 1-line block ×3, first 2 shown]
	v_lshrrev_b32_e32 v96, 16, v44
	v_fmac_f16_e32 v98, v11, v2
	v_fmac_f16_e32 v48, v12, v1
	;; [unrolled: 1-line block ×3, first 2 shown]
	v_lshrrev_b32_e32 v97, 16, v6
	v_fmac_f16_e32 v52, v14, v3
	v_fmac_f16_e32 v103, v16, v5
	;; [unrolled: 1-line block ×3, first 2 shown]
	v_sub_f16_e32 v0, v93, v91
	v_sub_f16_e32 v1, v95, v89
	;; [unrolled: 1-line block ×12, first 2 shown]
	v_fma_f16 v11, v93, 2.0, -v0
	v_fma_f16 v12, v95, 2.0, -v1
	;; [unrolled: 1-line block ×5, first 2 shown]
	v_add_f16_e32 v0, v7, v0
	v_sub_f16_e32 v10, v1, v10
	v_fma_f16 v15, v96, 2.0, -v3
	v_fma_f16 v44, v44, 2.0, -v8
	;; [unrolled: 1-line block ×3, first 2 shown]
	v_add_f16_e32 v2, v8, v2
	v_sub_f16_e32 v13, v3, v13
	v_fma_f16 v41, v53, 2.0, -v4
	v_fma_f16 v42, v97, 2.0, -v5
	v_fma_f16 v6, v6, 2.0, -v9
	v_fma_f16 v49, v52, 2.0, -v16
	v_add_f16_e32 v4, v9, v4
	v_sub_f16_e32 v16, v5, v16
	v_sub_f16_e32 v11, v12, v11
	v_fma_f16 v7, v7, 2.0, -v0
	v_fma_f16 v1, v1, 2.0, -v10
	v_pack_b32_f16 v0, v0, v10
	v_sub_f16_e32 v10, v43, v47
	v_sub_f16_e32 v14, v15, v14
	v_fma_f16 v8, v8, 2.0, -v2
	v_fma_f16 v3, v3, 2.0, -v13
	v_pack_b32_f16 v2, v2, v13
	;; [unrolled: 5-line block ×3, first 2 shown]
	v_sub_f16_e32 v16, v6, v49
	v_fma_f16 v12, v12, 2.0, -v11
	v_pack_b32_f16 v1, v7, v1
	v_fma_f16 v7, v43, 2.0, -v10
	v_fma_f16 v15, v15, 2.0, -v14
	v_pack_b32_f16 v3, v8, v3
	v_fma_f16 v8, v44, 2.0, -v13
	v_fma_f16 v42, v42, 2.0, -v41
	v_fma_f16 v6, v6, 2.0, -v16
	v_pack_b32_f16 v10, v10, v11
	v_pack_b32_f16 v7, v7, v12
	;; [unrolled: 1-line block ×7, first 2 shown]
	ds_store_2addr_b32 v86, v10, v0 offset0:72 offset1:108
	ds_store_2addr_b32 v86, v7, v1 offset1:36
	ds_store_2addr_b32 v87, v8, v3 offset1:36
	ds_store_2addr_b32 v87, v11, v2 offset0:72 offset1:108
	ds_store_2addr_b32 v88, v6, v5 offset1:36
	ds_store_2addr_b32 v88, v9, v4 offset0:72 offset1:108
	global_wb scope:SCOPE_SE
	s_wait_dscnt 0x0
	s_barrier_signal -1
	s_barrier_wait -1
	global_inv scope:SCOPE_SE
	ds_load_2addr_stride64_b32 v[6:7], v57 offset0:6 offset1:9
	ds_load_2addr_stride64_b32 v[8:9], v57 offset0:18 offset1:21
	;; [unrolled: 1-line block ×5, first 2 shown]
	v_add_co_u32 v0, vcc_lo, v45, v39
	v_mad_co_u64_u32 v[38:39], null, s5, v69, v[38:39]
	s_wait_alu 0xfffd
	v_add_co_ci_u32_e32 v1, vcc_lo, v46, v40, vcc_lo
	ds_load_2addr_stride64_b32 v[39:40], v57 offset1:3
	v_mov_b32_e32 v16, v36
	global_wb scope:SCOPE_SE
	s_wait_dscnt 0x0
	s_barrier_signal -1
	s_barrier_wait -1
	global_inv scope:SCOPE_SE
	s_wait_alu 0xfffe
	v_add_co_u32 v2, vcc_lo, v0, s2
	s_wait_alu 0xfffd
	v_add_co_ci_u32_e32 v3, vcc_lo, s3, v1, vcc_lo
	v_lshrrev_b32_e32 v36, 16, v7
	v_lshrrev_b32_e32 v41, 16, v8
	;; [unrolled: 1-line block ×4, first 2 shown]
	v_mul_f16_e32 v44, v123, v10
	v_lshrrev_b32_e32 v47, 16, v12
	v_lshrrev_b32_e32 v48, 16, v11
	v_mul_f16_e32 v49, v121, v9
	v_mul_f16_e32 v50, v122, v12
	v_lshrrev_b32_e32 v51, 16, v14
	v_mul_f16_e32 v52, v117, v7
	v_lshrrev_b32_e32 v53, 16, v13
	v_mul_f16_e32 v54, v116, v8
	v_mul_f16_e32 v69, v120, v11
	;; [unrolled: 1-line block ×4, first 2 shown]
	v_lshrrev_b32_e32 v84, 16, v15
	v_mul_f16_e32 v85, v115, v15
	v_mul_f16_e32 v89, v123, v42
	v_fma_f16 v42, v20, v42, -v44
	v_mul_f16_e32 v44, v121, v43
	v_fma_f16 v43, v21, v43, -v49
	v_mul_f16_e32 v49, v122, v47
	v_fma_f16 v47, v22, v47, -v50
	v_mul_f16_e32 v50, v117, v36
	v_fma_f16 v36, v17, v36, -v52
	v_mul_f16_e32 v52, v116, v41
	v_fma_f16 v41, v18, v41, -v54
	v_mul_f16_e32 v54, v120, v48
	v_fma_f16 v48, v23, v48, -v69
	v_mul_f16_e32 v69, v118, v51
	v_fma_f16 v51, v24, v51, -v82
	v_mul_f16_e32 v82, v119, v53
	v_fma_f16 v53, v25, v53, -v83
	v_mul_f16_e32 v83, v115, v84
	v_lshrrev_b32_e32 v86, 16, v39
	v_fma_f16 v84, v19, v84, -v85
	v_fmac_f16_e32 v52, v18, v8
	v_fmac_f16_e32 v50, v17, v7
	;; [unrolled: 1-line block ×3, first 2 shown]
	v_lshrrev_b32_e32 v87, 16, v40
	v_fmac_f16_e32 v89, v20, v10
	v_fmac_f16_e32 v44, v21, v9
	;; [unrolled: 1-line block ×3, first 2 shown]
	v_lshrrev_b32_e32 v88, 16, v6
	v_fmac_f16_e32 v54, v23, v11
	v_fmac_f16_e32 v82, v25, v13
	;; [unrolled: 1-line block ×3, first 2 shown]
	v_sub_f16_e32 v7, v86, v41
	v_sub_f16_e32 v8, v36, v84
	;; [unrolled: 1-line block ×12, first 2 shown]
	v_fma_f16 v14, v86, 2.0, -v7
	v_fma_f16 v17, v36, 2.0, -v8
	v_fma_f16 v36, v39, 2.0, -v13
	v_fma_f16 v39, v50, 2.0, -v15
	v_fma_f16 v19, v87, 2.0, -v9
	v_fma_f16 v21, v42, 2.0, -v10
	v_fma_f16 v40, v40, 2.0, -v18
	v_fma_f16 v41, v89, 2.0, -v20
	v_fma_f16 v23, v88, 2.0, -v11
	v_fma_f16 v25, v48, 2.0, -v12
	v_fma_f16 v6, v6, 2.0, -v22
	v_fma_f16 v42, v54, 2.0, -v24
	v_add_f16_e32 v8, v13, v8
	v_sub_f16_e32 v15, v7, v15
	v_sub_f16_e32 v17, v14, v17
	;; [unrolled: 1-line block ×4, first 2 shown]
	v_add_f16_e32 v10, v18, v10
	v_sub_f16_e32 v20, v9, v20
	v_sub_f16_e32 v41, v40, v41
	;; [unrolled: 1-line block ×3, first 2 shown]
	v_add_f16_e32 v12, v22, v12
	v_sub_f16_e32 v24, v11, v24
	v_sub_f16_e32 v42, v6, v42
	v_fma_f16 v13, v13, 2.0, -v8
	v_fma_f16 v7, v7, 2.0, -v15
	;; [unrolled: 1-line block ×3, first 2 shown]
	v_pack_b32_f16 v8, v8, v15
	v_fma_f16 v15, v36, 2.0, -v39
	v_fma_f16 v19, v19, 2.0, -v21
	;; [unrolled: 1-line block ×4, first 2 shown]
	v_pack_b32_f16 v10, v10, v20
	v_fma_f16 v20, v40, 2.0, -v41
	v_fma_f16 v23, v23, 2.0, -v25
	;; [unrolled: 1-line block ×5, first 2 shown]
	v_pack_b32_f16 v7, v13, v7
	v_pack_b32_f16 v13, v39, v17
	;; [unrolled: 1-line block ×10, first 2 shown]
	ds_store_2addr_b32 v114, v13, v8 offset0:32 offset1:176
	ds_store_2addr_b32 v109, v14, v7 offset1:144
	ds_store_2addr_b32 v111, v15, v9 offset1:144
	ds_store_2addr_b32 v113, v17, v10 offset0:32 offset1:176
	ds_store_2addr_b32 v110, v6, v11 offset1:144
	ds_store_2addr_b32 v112, v18, v12 offset0:32 offset1:176
	v_mad_co_u64_u32 v[16:17], null, s5, v68, v[16:17]
	global_wb scope:SCOPE_SE
	s_wait_dscnt 0x0
	s_barrier_signal -1
	s_barrier_wait -1
	global_inv scope:SCOPE_SE
	ds_load_2addr_stride64_b32 v[8:9], v57 offset1:3
	ds_load_2addr_stride64_b32 v[10:11], v57 offset0:6 offset1:9
	ds_load_2addr_stride64_b32 v[12:13], v57 offset0:18 offset1:21
	;; [unrolled: 1-line block ×5, first 2 shown]
	v_mov_b32_e32 v36, v16
	v_lshlrev_b64_e32 v[21:22], 2, v[37:38]
	v_mad_co_u64_u32 v[4:5], null, 0xc00, s4, v[2:3]
	s_mulk_i32 s5, 0xe500
	s_delay_alu instid0(VALU_DEP_3) | instskip(SKIP_2) | instid1(VALU_DEP_2)
	v_lshlrev_b64_e32 v[23:24], 2, v[35:36]
	s_wait_alu 0xfffe
	s_sub_co_i32 s5, s5, s4
	v_add_nc_u32_e32 v5, s6, v5
	s_wait_dscnt 0x5
	v_lshrrev_b32_e32 v16, 16, v8
	s_wait_dscnt 0x4
	v_lshrrev_b32_e32 v25, 16, v11
	s_wait_dscnt 0x3
	v_lshrrev_b32_e32 v35, 16, v12
	s_wait_dscnt 0x2
	v_lshrrev_b32_e32 v36, 16, v15
	s_wait_dscnt 0x1
	v_lshrrev_b32_e32 v38, 16, v17
	v_lshrrev_b32_e32 v39, 16, v13
	s_wait_dscnt 0x0
	v_lshrrev_b32_e32 v40, 16, v19
	v_mul_f16_e64 v47, v132, v11
	v_mul_f16_e64 v48, v130, v12
	v_mul_f16_e64 v49, v131, v15
	v_mul_f16_e64 v50, v129, v17
	v_mul_f16_e32 v51, v126, v13
	v_lshrrev_b32_e32 v42, 16, v18
	v_lshrrev_b32_e32 v43, 16, v14
	v_lshrrev_b32_e32 v44, 16, v20
	v_mul_f16_e64 v52, v128, v19
	v_mul_f16_e32 v53, v127, v18
	v_mul_f16_e32 v54, v125, v14
	v_mul_f16_e64 v69, v132, v25
	v_fma_f16 v25, v26, v25, -v47
	v_mul_f16_e64 v47, v130, v35
	v_fma_f16 v35, v27, v35, -v48
	;; [unrolled: 2-line block ×4, first 2 shown]
	v_mul_f16_e32 v50, v126, v39
	v_fma_f16 v39, v30, v39, -v51
	v_mul_f16_e64 v51, v128, v40
	v_mul_f16_e32 v68, v124, v20
	v_fma_f16 v40, v31, v40, -v52
	v_mul_f16_e32 v52, v127, v42
	v_fma_f16 v42, v32, v42, -v53
	;; [unrolled: 2-line block ×3, first 2 shown]
	v_mul_f16_e32 v54, v124, v44
	v_lshrrev_b32_e32 v37, 16, v9
	v_fmac_f16_e32 v69, v26, v11
	v_fmac_f16_e32 v47, v27, v12
	;; [unrolled: 1-line block ×6, first 2 shown]
	v_sub_f16_e32 v12, v25, v36
	v_lshrrev_b32_e32 v41, 16, v10
	v_fma_f16 v44, v34, v44, -v68
	v_fmac_f16_e32 v52, v32, v18
	v_fmac_f16_e32 v53, v33, v14
	v_fmac_f16_e32 v54, v34, v20
	v_sub_f16_e32 v11, v16, v35
	v_sub_f16_e32 v13, v37, v39
	;; [unrolled: 1-line block ×5, first 2 shown]
	v_fma_f16 v20, v25, 2.0, -v12
	v_sub_f16_e32 v25, v9, v50
	v_sub_f16_e32 v27, v49, v51
	;; [unrolled: 1-line block ×6, first 2 shown]
	v_fma_f16 v16, v16, 2.0, -v11
	v_fma_f16 v26, v37, 2.0, -v13
	;; [unrolled: 1-line block ×11, first 2 shown]
	v_add_f16_e32 v12, v18, v12
	v_sub_f16_e32 v19, v11, v19
	v_sub_f16_e32 v20, v16, v20
	;; [unrolled: 1-line block ×7, first 2 shown]
	v_add_f16_e32 v14, v25, v14
	v_sub_f16_e32 v27, v13, v27
	v_add_f16_e32 v17, v29, v17
	v_sub_f16_e32 v31, v15, v31
	v_fma_f16 v18, v18, 2.0, -v12
	v_fma_f16 v11, v11, 2.0, -v19
	;; [unrolled: 1-line block ×12, first 2 shown]
	v_pack_b32_f16 v11, v18, v11
	v_pack_b32_f16 v12, v12, v19
	;; [unrolled: 1-line block ×12, first 2 shown]
	ds_store_b32 v57, v11 offset:2304
	ds_store_b32 v57, v12 offset:6912
	;; [unrolled: 1-line block ×3, first 2 shown]
	ds_store_2addr_stride64_b32 v57, v8, v9 offset1:3
	ds_store_b32 v57, v10 offset:1536
	ds_store_b32 v57, v14 offset:7680
	ds_store_2addr_stride64_b32 v57, v13, v15 offset0:12 offset1:15
	ds_store_2addr_stride64_b32 v57, v19, v20 offset0:21 offset1:24
	ds_store_b32 v57, v17 offset:8448
	global_wb scope:SCOPE_SE
	s_wait_dscnt 0x0
	s_barrier_signal -1
	s_barrier_wait -1
	global_inv scope:SCOPE_SE
	ds_load_2addr_stride64_b32 v[16:17], v57 offset1:3
	ds_load_2addr_stride64_b32 v[18:19], v57 offset0:6 offset1:9
	ds_load_2addr_stride64_b32 v[25:26], v57 offset0:12 offset1:15
	;; [unrolled: 1-line block ×5, first 2 shown]
	v_add_co_u32 v10, vcc_lo, v45, v21
	s_wait_alu 0xfffd
	v_add_co_ci_u32_e32 v11, vcc_lo, v46, v22, vcc_lo
	v_add_co_u32 v12, vcc_lo, v45, v23
	s_wait_alu 0xfffd
	v_add_co_ci_u32_e32 v13, vcc_lo, v46, v24, vcc_lo
	v_mad_co_u64_u32 v[6:7], null, 0xc00, s4, v[4:5]
	s_wait_dscnt 0x3
	v_lshrrev_b32_e32 v23, 16, v25
	v_lshrrev_b32_e32 v20, 16, v16
	;; [unrolled: 1-line block ×3, first 2 shown]
	v_mul_f16_e32 v22, v79, v18
	v_mul_f16_e32 v24, v80, v25
	s_wait_dscnt 0x2
	v_lshrrev_b32_e32 v33, 16, v27
	v_mul_f16_e32 v34, v78, v27
	v_lshrrev_b32_e32 v39, 16, v17
	v_mul_f16_e32 v40, v72, v17
	v_fma_f16 v22, v63, v21, -v22
	s_wait_dscnt 0x1
	v_lshrrev_b32_e32 v35, 16, v29
	v_mul_f16_e32 v36, v70, v29
	v_lshrrev_b32_e32 v41, 16, v19
	v_mul_f16_e32 v42, v73, v19
	v_mul_f16_e32 v52, v81, v20
	;; [unrolled: 1-line block ×4, first 2 shown]
	v_fma_f16 v21, v62, v23, -v24
	v_fma_f16 v23, v59, v33, -v34
	;; [unrolled: 1-line block ×3, first 2 shown]
	v_mul_f16_e32 v39, v72, v39
	v_cvt_f32_f16_e32 v22, v22
	s_wait_dscnt 0x0
	v_lshrrev_b32_e32 v37, 16, v31
	v_mul_f16_e32 v38, v71, v31
	v_lshrrev_b32_e32 v43, 16, v26
	v_mul_f16_e32 v44, v74, v26
	;; [unrolled: 2-line block ×3, first 2 shown]
	v_mul_f16_e32 v51, v81, v16
	v_fma_f16 v24, v56, v35, -v36
	v_fma_f16 v36, v61, v41, -v42
	v_mul_f16_e32 v41, v73, v41
	v_cvt_f32_f16_e32 v21, v21
	v_fmac_f16_e32 v52, v55, v16
	v_fmac_f16_e32 v39, v64, v17
	v_cvt_f64_f32_e32 v[16:17], v22
	v_lshrrev_b32_e32 v45, 16, v28
	v_mul_f16_e32 v46, v75, v28
	v_mul_f16_e32 v57, v78, v33
	v_fma_f16 v33, v67, v37, -v38
	v_fma_f16 v38, v60, v43, -v44
	;; [unrolled: 1-line block ×4, first 2 shown]
	v_cvt_f32_f16_e32 v23, v23
	v_fmac_f16_e32 v53, v63, v18
	v_fmac_f16_e32 v41, v61, v19
	v_cvt_f64_f32_e32 v[18:19], v21
	v_fma_f16 v40, v58, v45, -v46
	v_mul_f16_e32 v46, v70, v35
	v_cvt_f32_f16_e32 v24, v24
	v_cvt_f32_f16_e32 v35, v36
	;; [unrolled: 1-line block ×5, first 2 shown]
	v_cvt_f64_f32_e32 v[20:21], v23
	v_cvt_f32_f16_e32 v33, v33
	v_cvt_f64_f32_e32 v[22:23], v24
	v_lshrrev_b32_e32 v49, 16, v32
	v_mul_f16_e32 v50, v77, v32
	v_mul_f16_e32 v43, v74, v43
	v_cvt_f32_f16_e32 v34, v34
	v_fmac_f16_e32 v54, v62, v25
	v_cvt_f64_f32_e32 v[24:25], v33
	v_mul_f16_e32 v48, v71, v37
	v_mul_f16_e32 v45, v75, v45
	;; [unrolled: 1-line block ×3, first 2 shown]
	v_fma_f16 v44, v65, v49, -v50
	v_mul_f16_e32 v49, v77, v49
	v_fmac_f16_e32 v57, v59, v27
	v_fmac_f16_e32 v43, v60, v26
	v_cvt_f64_f32_e32 v[26:27], v34
	v_fmac_f16_e32 v46, v56, v29
	v_fmac_f16_e32 v48, v67, v31
	;; [unrolled: 1-line block ×5, first 2 shown]
	v_cvt_f64_f32_e32 v[28:29], v35
	v_cvt_f32_f16_e32 v37, v40
	v_cvt_f32_f16_e32 v40, v44
	;; [unrolled: 1-line block ×13, first 2 shown]
	v_cvt_f64_f32_e32 v[30:31], v36
	v_cvt_f32_f16_e32 v62, v49
	v_cvt_f64_f32_e32 v[32:33], v37
	v_cvt_f64_f32_e32 v[34:35], v38
	;; [unrolled: 1-line block ×15, first 2 shown]
	v_mul_f64_e32 v[64:65], s[0:1], v[16:17]
	v_cvt_f64_f32_e32 v[62:63], v62
	v_add_nc_u32_e32 v7, s6, v7
	v_mul_f64_e32 v[66:67], s[0:1], v[18:19]
	v_mul_f64_e32 v[68:69], s[0:1], v[20:21]
	;; [unrolled: 1-line block ×4, first 2 shown]
	v_mad_co_u64_u32 v[8:9], null, 0xffffe500, s4, v[6:7]
	v_mul_f64_e32 v[26:27], s[0:1], v[26:27]
	v_mul_f64_e32 v[72:73], s[0:1], v[28:29]
	s_wait_alu 0xfffe
	s_delay_alu instid0(VALU_DEP_3) | instskip(NEXT) | instid1(VALU_DEP_4)
	v_add_nc_u32_e32 v9, s5, v9
	v_add_co_u32 v14, vcc_lo, v8, s2
	s_wait_alu 0xfffd
	s_delay_alu instid0(VALU_DEP_2) | instskip(NEXT) | instid1(VALU_DEP_2)
	v_add_co_ci_u32_e32 v15, vcc_lo, s3, v9, vcc_lo
	v_add_co_u32 v16, vcc_lo, v14, s2
	v_mul_f64_e32 v[74:75], s[0:1], v[30:31]
	s_wait_alu 0xfffd
	s_delay_alu instid0(VALU_DEP_3) | instskip(NEXT) | instid1(VALU_DEP_3)
	v_add_co_ci_u32_e32 v17, vcc_lo, s3, v15, vcc_lo
	v_add_co_u32 v18, vcc_lo, v16, s2
	v_mul_f64_e32 v[78:79], s[0:1], v[34:35]
	s_wait_alu 0xfffd
	s_delay_alu instid0(VALU_DEP_3) | instskip(NEXT) | instid1(VALU_DEP_3)
	v_add_co_ci_u32_e32 v19, vcc_lo, s3, v17, vcc_lo
	v_add_co_u32 v20, vcc_lo, v18, s2
	v_mul_f64_e32 v[35:36], s[0:1], v[36:37]
	s_wait_alu 0xfffd
	s_delay_alu instid0(VALU_DEP_3)
	v_add_co_ci_u32_e32 v21, vcc_lo, s3, v19, vcc_lo
	v_mul_f64_e32 v[28:29], s[0:1], v[38:39]
	v_mul_f64_e32 v[37:38], s[0:1], v[40:41]
	;; [unrolled: 1-line block ×12, first 2 shown]
	v_and_or_b32 v61, 0x1ff, v65, v64
	v_add_co_u32 v22, vcc_lo, v20, s2
	v_mul_f64_e32 v[76:77], s[0:1], v[32:33]
	v_mul_f64_e32 v[59:60], s[0:1], v[62:63]
	s_wait_alu 0xfffd
	v_add_co_ci_u32_e32 v23, vcc_lo, s3, v21, vcc_lo
	v_and_or_b32 v64, 0x1ff, v67, v66
	v_cmp_ne_u32_e32 vcc_lo, 0, v61
	v_and_or_b32 v68, 0x1ff, v69, v68
	v_and_or_b32 v70, 0x1ff, v71, v70
	;; [unrolled: 1-line block ×4, first 2 shown]
	s_wait_alu 0xfffd
	v_cndmask_b32_e64 v61, 0, 1, vcc_lo
	v_cmp_ne_u32_e32 vcc_lo, 0, v64
	v_and_or_b32 v72, 0x1ff, v73, v72
	v_and_or_b32 v74, 0x1ff, v75, v74
	v_lshrrev_b32_e32 v62, 8, v65
	v_and_or_b32 v78, 0x1ff, v79, v78
	s_wait_alu 0xfffd
	v_cndmask_b32_e64 v64, 0, 1, vcc_lo
	v_cmp_ne_u32_e32 vcc_lo, 0, v68
	v_bfe_u32 v63, v65, 20, 11
	v_bfe_u32 v82, v69, 20, 11
	v_and_or_b32 v99, 0x1ff, v36, v35
	v_lshrrev_b32_e32 v34, 16, v65
	s_wait_alu 0xfffd
	v_cndmask_b32_e64 v68, 0, 1, vcc_lo
	v_cmp_ne_u32_e32 vcc_lo, 0, v70
	v_and_or_b32 v102, 0x1ff, v29, v28
	v_and_or_b32 v65, 0x1ff, v38, v37
	v_lshrrev_b32_e32 v81, 8, v69
	v_bfe_u32 v90, v27, 20, 11
	s_wait_alu 0xfffd
	v_cndmask_b32_e64 v70, 0, 1, vcc_lo
	v_cmp_ne_u32_e32 vcc_lo, 0, v85
	v_and_or_b32 v123, 0x1ff, v48, v47
	v_lshrrev_b32_e32 v32, 16, v69
	v_and_or_b32 v69, 0x1ff, v40, v39
	v_sub_nc_u32_e32 v107, 0x3f1, v82
	s_wait_alu 0xfffd
	v_cndmask_b32_e64 v85, 0, 1, vcc_lo
	v_cmp_ne_u32_e32 vcc_lo, 0, v88
	v_lshrrev_b32_e32 v86, 8, v25
	v_bfe_u32 v87, v25, 20, 11
	v_and_or_b32 v76, 0x1ff, v77, v76
	v_and_or_b32 v141, 0x1ff, v60, v59
	s_wait_alu 0xfffd
	v_cndmask_b32_e64 v88, 0, 1, vcc_lo
	v_cmp_ne_u32_e32 vcc_lo, 0, v72
	v_lshrrev_b32_e32 v142, 8, v60
	v_bfe_u32 v143, v60, 20, 11
	v_lshrrev_b32_e32 v47, 16, v60
	v_lshrrev_b32_e32 v97, 8, v79
	s_wait_alu 0xfffd
	v_cndmask_b32_e64 v60, 0, 1, vcc_lo
	v_cmp_ne_u32_e32 vcc_lo, 0, v74
	v_bfe_u32 v98, v79, 20, 11
	v_lshrrev_b32_e32 v30, 16, v25
	v_lshrrev_b32_e32 v25, 16, v79
	v_and_or_b32 v79, 0x1ff, v42, v41
	s_wait_alu 0xfffd
	v_cndmask_b32_e64 v72, 0, 1, vcc_lo
	v_cmp_ne_u32_e32 vcc_lo, 0, v76
	v_sub_nc_u32_e32 v110, 0x3f1, v90
	v_and_or_b32 v132, 0x1ff, v54, v53
	v_add_nc_u32_e32 v53, 0xfffffc10, v90
	v_med3_i32 v90, v107, 0, 13
	s_wait_alu 0xfffd
	v_cndmask_b32_e64 v74, 0, 1, vcc_lo
	v_cmp_ne_u32_e32 vcc_lo, 0, v78
	v_and_or_b32 v117, 0x1ff, v44, v43
	v_bfe_u32 v84, v71, 20, 11
	v_lshrrev_b32_e32 v100, 8, v36
	v_and_or_b32 v120, 0x1ff, v46, v45
	s_wait_alu 0xfffd
	v_cndmask_b32_e64 v76, 0, 1, vcc_lo
	v_cmp_ne_u32_e32 vcc_lo, 0, v99
	v_bfe_u32 v92, v73, 20, 11
	v_sub_nc_u32_e32 v108, 0x3f1, v84
	v_lshrrev_b32_e32 v89, 8, v27
	v_and_or_b32 v76, 0xffe, v97, v76
	s_wait_alu 0xfffd
	v_cndmask_b32_e64 v78, 0, 1, vcc_lo
	v_cmp_ne_u32_e32 vcc_lo, 0, v102
	v_bfe_u32 v94, v75, 20, 11
	v_sub_nc_u32_e32 v111, 0x3f1, v92
	v_and_or_b32 v126, 0x1ff, v50, v49
	v_and_or_b32 v78, 0xffe, v100, v78
	s_wait_alu 0xfffd
	v_cndmask_b32_e64 v99, 0, 1, vcc_lo
	v_cmp_ne_u32_e32 vcc_lo, 0, v65
	v_and_or_b32 v129, 0x1ff, v52, v51
	v_lshrrev_b32_e32 v130, 8, v52
	v_bfe_u32 v131, v52, 20, 11
	v_lshrrev_b32_e32 v43, 16, v52
	s_wait_alu 0xfffd
	v_cndmask_b32_e64 v107, 0, 1, vcc_lo
	v_cmp_ne_u32_e32 vcc_lo, 0, v69
	v_add_nc_u32_e32 v52, 0xfffffc10, v92
	v_med3_i32 v92, v108, 0, 13
	v_bfe_u32 v96, v77, 20, 11
	v_sub_nc_u32_e32 v112, 0x3f1, v94
	s_wait_alu 0xfffd
	v_cndmask_b32_e64 v97, 0, 1, vcc_lo
	v_cmp_ne_u32_e32 vcc_lo, 0, v79
	v_and_or_b32 v88, 0xffe, v89, v88
	v_med3_i32 v89, v110, 0, 13
	v_bfe_u32 v80, v67, 20, 11
	v_sub_nc_u32_e32 v113, 0x3f1, v96
	s_wait_alu 0xfffd
	v_cndmask_b32_e64 v79, 0, 1, vcc_lo
	v_cmp_ne_u32_e32 vcc_lo, 0, v117
	v_sub_nc_u32_e32 v114, 0x3f1, v98
	v_add_nc_u32_e32 v49, 0xfffffc10, v98
	v_med3_i32 v98, v112, 0, 13
	v_lshrrev_b32_e32 v83, 8, v71
	s_wait_alu 0xfffd
	v_cndmask_b32_e64 v100, 0, 1, vcc_lo
	v_cmp_ne_u32_e32 vcc_lo, 0, v120
	v_lshrrev_b32_e32 v95, 8, v77
	v_bfe_u32 v101, v36, 20, 11
	v_bfe_u32 v104, v29, 20, 11
	v_lshrrev_b32_e32 v31, 16, v71
	s_wait_alu 0xfffd
	v_cndmask_b32_e64 v108, 0, 1, vcc_lo
	v_cmp_ne_u32_e32 vcc_lo, 0, v123
	v_lshrrev_b32_e32 v26, 16, v77
	v_bfe_u32 v77, v40, 20, 11
	v_sub_nc_u32_e32 v71, 0x3f1, v63
	v_sub_nc_u32_e32 v106, 0x3f1, v80
	s_wait_alu 0xfffd
	v_cndmask_b32_e64 v110, 0, 1, vcc_lo
	v_cmp_ne_u32_e32 vcc_lo, 0, v126
	v_and_or_b32 v135, 0x1ff, v56, v55
	v_and_or_b32 v138, 0x1ff, v58, v57
	v_add_nc_u32_e32 v57, 0xfffffc10, v80
	v_and_or_b32 v80, 0xffe, v62, v61
	s_wait_alu 0xfffd
	v_cndmask_b32_e64 v112, 0, 1, vcc_lo
	v_cmp_ne_u32_e32 vcc_lo, 0, v129
	v_med3_i32 v102, v113, 0, 13
	v_lshrrev_b32_e32 v93, 8, v75
	v_lshrrev_b32_e32 v103, 8, v29
	v_sub_nc_u32_e32 v115, 0x3f1, v101
	s_wait_alu 0xfffd
	v_cndmask_b32_e64 v113, 0, 1, vcc_lo
	v_cmp_ne_u32_e32 vcc_lo, 0, v132
	v_bfe_u32 v119, v44, 20, 11
	v_lshrrev_b32_e32 v124, 8, v48
	v_bfe_u32 v125, v48, 20, 11
	v_lshrrev_b32_e32 v41, 16, v48
	v_sub_nc_u32_e32 v144, 0x3f1, v104
	v_add_nc_u32_e32 v59, 0xfffffc10, v104
	v_add_nc_u32_e32 v55, 0xfffffc10, v84
	;; [unrolled: 1-line block ×3, first 2 shown]
	v_med3_i32 v84, v71, 0, 13
	v_and_or_b32 v81, 0xffe, v81, v68
	v_and_or_b32 v83, 0xffe, v83, v70
	v_sub_nc_u32_e32 v101, 0x3f1, v77
	v_med3_i32 v104, v114, 0, 13
	s_wait_alu 0xfffd
	v_cndmask_b32_e64 v114, 0, 1, vcc_lo
	v_cmp_ne_u32_e32 vcc_lo, 0, v135
	v_add_nc_u32_e32 v70, 0xfffffc10, v77
	v_or_b32_e32 v77, 0x1000, v80
	v_bfe_u32 v137, v56, 20, 11
	v_and_or_b32 v72, 0xffe, v93, v72
	v_med3_i32 v93, v115, 0, 13
	v_and_or_b32 v99, 0xffe, v103, v99
	v_sub_nc_u32_e32 v103, 0x3f1, v119
	s_wait_alu 0xfffd
	v_cndmask_b32_e64 v115, 0, 1, vcc_lo
	v_cmp_ne_u32_e32 vcc_lo, 0, v138
	v_add_nc_u32_e32 v68, 0xfffffc10, v119
	v_or_b32_e32 v119, 0x1000, v81
	v_and_or_b32 v110, 0xffe, v124, v110
	v_lshrrev_b32_e32 v124, v84, v77
	s_wait_alu 0xfffd
	v_cndmask_b32_e64 v117, 0, 1, vcc_lo
	v_cmp_ne_u32_e32 vcc_lo, 0, v141
	v_sub_nc_u32_e32 v132, 0x3f1, v137
	v_add_nc_u32_e32 v62, 0xfffffc10, v137
	v_lshlrev_b32_e32 v84, v84, v124
	v_lshrrev_b32_e32 v137, v90, v119
	v_bfe_u32 v128, v50, 20, 11
	s_wait_alu 0xfffd
	v_cndmask_b32_e64 v120, 0, 1, vcc_lo
	v_cmp_ne_u32_e64 s12, 0, v88
	v_cmp_ne_u32_e32 vcc_lo, v84, v77
	v_lshlrev_b32_e32 v84, v90, v137
	v_lshrrev_b32_e32 v66, 8, v67
	v_lshrrev_b32_e32 v33, 16, v67
	v_bfe_u32 v67, v38, 20, 11
	v_sub_nc_u32_e32 v109, 0x3f1, v87
	v_bfe_u32 v122, v46, 20, 11
	v_sub_nc_u32_e32 v123, 0x3f1, v128
	v_add_nc_u32_e32 v65, 0xfffffc10, v128
	v_or_b32_e32 v128, 0x1000, v88
	v_cmp_ne_u32_e64 s0, v84, v119
	v_lshl_or_b32 v84, v53, 12, v88
	s_wait_alu 0xf1ff
	v_cndmask_b32_e64 v88, 0, 1, s12
	v_bfe_u32 v134, v54, 20, 11
	v_lshrrev_b32_e32 v136, 8, v56
	v_lshrrev_b32_e32 v139, 8, v58
	;; [unrolled: 1-line block ×3, first 2 shown]
	v_add_nc_u32_e32 v51, 0xfffffc10, v94
	v_and_or_b32 v85, 0xffe, v86, v85
	v_med3_i32 v86, v109, 0, 13
	v_sub_nc_u32_e32 v94, 0x3f1, v67
	v_sub_nc_u32_e32 v109, 0x3f1, v122
	v_add_nc_u32_e32 v71, 0xfffffc10, v67
	v_add_nc_u32_e32 v67, 0xfffffc10, v122
	v_or_b32_e32 v122, 0x1000, v83
	v_lshl_or_b32 v88, v88, 9, 0x7c00
	v_add_nc_u32_e32 v56, 0xfffffc10, v82
	v_and_or_b32 v82, 0xffe, v66, v64
	v_lshrrev_b32_e32 v91, 8, v73
	v_lshrrev_b32_e32 v28, 16, v73
	;; [unrolled: 1-line block ×5, first 2 shown]
	v_bfe_u32 v116, v42, 20, 11
	v_lshrrev_b32_e32 v127, 8, v50
	v_lshrrev_b32_e32 v36, 16, v38
	;; [unrolled: 1-line block ×4, first 2 shown]
	v_add_nc_u32_e32 v50, 0xfffffc10, v96
	v_med3_i32 v96, v111, 0, 13
	v_sub_nc_u32_e32 v111, 0x3f1, v125
	v_sub_nc_u32_e32 v129, 0x3f1, v134
	v_add_nc_u32_e32 v66, 0xfffffc10, v125
	v_or_b32_e32 v125, 0x1000, v85
	v_and_or_b32 v117, 0xffe, v139, v117
	v_lshrrev_b32_e32 v139, v92, v122
	v_cmp_ne_u32_e64 s8, 0, v82
	v_lshrrev_b32_e32 v118, 8, v44
	v_lshrrev_b32_e32 v133, 8, v54
	;; [unrolled: 1-line block ×4, first 2 shown]
	v_add_nc_u32_e32 v54, 0xfffffc10, v87
	v_med3_i32 v87, v106, 0, 13
	v_sub_nc_u32_e32 v106, 0x3f1, v116
	v_add_nc_u32_e32 v69, 0xfffffc10, v116
	v_or_b32_e32 v116, 0x1000, v82
	v_and_or_b32 v113, 0xffe, v130, v113
	v_lshl_or_b32 v130, v57, 12, v82
	v_med3_i32 v90, v129, 0, 13
	v_med3_i32 v129, v132, 0, 13
	v_lshlrev_b32_e32 v92, v92, v139
	v_lshrrev_b32_e32 v132, v86, v125
	v_cndmask_b32_e64 v82, 0, 1, s8
	v_lshrrev_b32_e32 v35, 16, v29
	v_lshrrev_b32_e32 v29, 16, v27
	;; [unrolled: 1-line block ×7, first 2 shown]
	v_bfe_u32 v140, v58, 20, 11
	v_lshrrev_b32_e32 v46, 16, v58
	v_and_or_b32 v74, 0xffe, v95, v74
	v_cmp_ne_u32_e64 s1, v92, v122
	v_lshrrev_b32_e32 v92, v89, v128
	v_lshlrev_b32_e32 v86, v86, v132
	v_lshl_or_b32 v82, v82, 9, 0x7c00
	v_add_nc_u32_e32 v58, 0xfffffc10, v63
	v_add_nc_u32_e32 v63, 0xfffffc10, v134
	v_or_b32_e32 v134, 0x1000, v72
	v_and_or_b32 v73, 0xffe, v73, v107
	v_or_b32_e32 v107, 0x1000, v74
	v_lshlrev_b32_e32 v89, v89, v92
	v_cmp_ne_u32_e64 s2, v86, v125
	v_lshrrev_b32_e32 v125, v98, v134
	v_and_or_b32 v75, 0xffe, v75, v97
	v_or_b32_e32 v97, 0x1000, v76
	v_cmp_ne_u32_e64 s3, v89, v128
	v_lshrrev_b32_e32 v128, v102, v107
	v_lshlrev_b32_e32 v98, v98, v125
	v_and_or_b32 v79, 0xffe, v105, v79
	v_or_b32_e32 v105, 0x1000, v78
	v_cmp_ne_u32_e64 s6, 0, v99
	v_lshlrev_b32_e32 v102, v102, v128
	v_cmp_ne_u32_e64 s5, v98, v134
	v_lshrrev_b32_e32 v98, v104, v97
	v_and_or_b32 v100, 0xffe, v118, v100
	v_or_b32_e32 v118, 0x1000, v99
	v_med3_i32 v101, v101, 0, 13
	v_and_or_b32 v108, 0xffe, v121, v108
	v_lshl_or_b32 v121, v59, 12, v99
	s_wait_alu 0xf1ff
	v_cndmask_b32_e64 v99, 0, 1, s6
	v_lshrrev_b32_e32 v134, v93, v105
	v_cmp_ne_u32_e64 s6, v102, v107
	v_or_b32_e32 v102, 0x1000, v75
	v_lshlrev_b32_e32 v104, v104, v98
	v_cmp_ne_u32_e64 s7, 0, v80
	v_med3_i32 v106, v106, 0, 13
	v_and_or_b32 v112, 0xffe, v127, v112
	v_lshl_or_b32 v127, v58, 12, v80
	v_or_b32_e32 v107, 0x1000, v79
	s_wait_alu 0xf1ff
	v_cndmask_b32_e64 v80, 0, 1, s7
	v_lshlrev_b32_e32 v93, v93, v134
	v_cmp_ne_u32_e64 s7, v104, v97
	v_lshrrev_b32_e32 v97, v101, v102
	v_med3_i32 v103, v103, 0, 13
	v_or_b32_e32 v104, 0x1000, v100
	v_cmp_ne_u32_e64 s8, v93, v105
	v_lshrrev_b32_e32 v93, v106, v107
	v_lshlrev_b32_e32 v101, v101, v97
	v_cmp_ne_u32_e64 s9, 0, v81
	v_med3_i32 v109, v109, 0, 13
	v_and_or_b32 v114, 0xffe, v133, v114
	v_lshl_or_b32 v133, v56, 12, v81
	v_or_b32_e32 v105, 0x1000, v108
	s_wait_alu 0xf1ff
	v_cndmask_b32_e64 v81, 0, 1, s9
	v_lshlrev_b32_e32 v106, v106, v93
	v_cmp_ne_u32_e64 s9, v101, v102
	v_lshrrev_b32_e32 v101, v103, v104
	v_cmp_ne_u32_e64 s10, 0, v83
	v_med3_i32 v111, v111, 0, 13
	v_and_or_b32 v115, 0xffe, v136, v115
	v_lshl_or_b32 v136, v55, 12, v83
	v_or_b32_e32 v102, 0x1000, v110
	s_wait_alu 0xf1ff
	v_cndmask_b32_e64 v83, 0, 1, s10
	v_cmp_ne_u32_e64 s10, v106, v107
	v_lshrrev_b32_e32 v106, v109, v105
	v_lshlrev_b32_e32 v103, v103, v101
	v_cmp_ne_u32_e64 s11, 0, v85
	v_and_or_b32 v91, 0xffe, v91, v60
	v_sub_nc_u32_e32 v126, 0x3f1, v131
	v_med3_i32 v123, v123, 0, 13
	v_lshl_or_b32 v77, v54, 12, v85
	s_wait_alu 0xf1ff
	v_cndmask_b32_e64 v85, 0, 1, s11
	v_or_b32_e32 v107, 0x1000, v112
	v_lshlrev_b32_e32 v109, v109, v106
	v_cmp_ne_u32_e64 s11, v103, v104
	v_lshrrev_b32_e32 v103, v111, v102
	v_med3_i32 v126, v126, 0, 13
	v_or_b32_e32 v104, 0x1000, v113
	v_cmp_ne_u32_e64 s12, v109, v105
	v_lshrrev_b32_e32 v105, v123, v107
	v_lshlrev_b32_e32 v109, v111, v103
	v_cmp_ne_u32_e64 s13, 0, v91
	v_sub_nc_u32_e32 v135, 0x3f1, v140
	v_sub_nc_u32_e32 v138, 0x3f1, v143
	v_add_nc_u32_e32 v64, 0xfffffc10, v131
	v_or_b32_e32 v131, 0x1000, v91
	v_lshl_or_b32 v119, v52, 12, v91
	s_wait_alu 0xf1ff
	v_cndmask_b32_e64 v91, 0, 1, s13
	v_or_b32_e32 v111, 0x1000, v114
	v_lshlrev_b32_e32 v123, v123, v105
	v_cmp_ne_u32_e64 s13, v109, v102
	v_lshrrev_b32_e32 v102, v126, v104
	v_cmp_ne_u32_e64 s14, 0, v72
	v_med3_i32 v122, v135, 0, 13
	v_med3_i32 v135, v138, 0, 13
	v_lshrrev_b32_e32 v138, v96, v131
	v_lshl_or_b32 v86, v51, 12, v72
	s_wait_alu 0xf1ff
	v_cndmask_b32_e64 v72, 0, 1, s14
	v_or_b32_e32 v109, 0x1000, v115
	v_cmp_ne_u32_e64 s14, v123, v107
	v_lshrrev_b32_e32 v107, v90, v111
	v_lshlrev_b32_e32 v123, v126, v102
	v_cmp_ne_u32_e64 s15, 0, v74
	v_lshlrev_b32_e32 v96, v96, v138
	v_lshl_or_b32 v89, v50, 12, v74
	v_or_b32_e32 v126, 0x1000, v117
	v_lshlrev_b32_e32 v90, v90, v107
	s_wait_alu 0xf1ff
	v_cndmask_b32_e64 v74, 0, 1, s15
	v_cmp_ne_u32_e64 s15, v123, v104
	v_lshrrev_b32_e32 v104, v129, v109
	v_cmp_ne_u32_e64 s16, 0, v76
	v_med3_i32 v95, v144, 0, 13
	v_cmp_ne_u32_e64 s4, v96, v131
	v_lshl_or_b32 v96, v49, 12, v76
	v_cmp_ne_u32_e64 s17, 0, v78
	s_wait_alu 0xf1ff
	v_cndmask_b32_e64 v76, 0, 1, s16
	v_cmp_ne_u32_e64 s16, v90, v111
	v_lshrrev_b32_e32 v90, v122, v126
	v_lshlrev_b32_e32 v111, v129, v104
	v_lshl_or_b32 v131, v48, 12, v78
	v_cndmask_b32_e64 v78, 0, 1, s17
	v_med3_i32 v94, v94, 0, 13
	v_lshlrev_b32_e32 v122, v122, v90
	v_cmp_ne_u32_e64 s17, v111, v109
	v_lshrrev_b32_e32 v109, v87, v116
	v_lshrrev_b32_e32 v111, v95, v118
	v_and_or_b32 v120, 0xffe, v142, v120
	v_cmp_ne_u32_e64 s18, v122, v126
	v_or_b32_e32 v122, 0x1000, v73
	v_lshlrev_b32_e32 v87, v87, v109
	v_lshlrev_b32_e32 v95, v95, v111
	v_or_b32_e32 v123, 0x1000, v120
	v_lshl_or_b32 v126, v71, 12, v73
	v_add_nc_u32_e32 v61, 0xfffffc10, v140
	v_add_nc_u32_e32 v60, 0xfffffc10, v143
	v_cmp_ne_u32_e64 s20, v95, v118
	s_wait_alu 0xfffd
	v_cndmask_b32_e64 v118, 0, 1, vcc_lo
	v_cmp_ne_u32_e32 vcc_lo, v87, v116
	v_lshrrev_b32_e32 v87, v94, v122
	v_lshrrev_b32_e32 v129, v135, v123
	v_cndmask_b32_e64 v95, 0, 1, s20
	v_or_b32_e32 v118, v124, v118
	s_wait_alu 0xfffd
	v_cndmask_b32_e64 v116, 0, 1, vcc_lo
	v_lshlrev_b32_e32 v94, v94, v87
	v_lshlrev_b32_e32 v135, v135, v129
	v_or_b32_e32 v95, v111, v95
	v_cndmask_b32_e64 v111, 0, 1, s0
	v_or_b32_e32 v109, v109, v116
	v_cmp_ne_u32_e32 vcc_lo, v94, v122
	v_cmp_ne_u32_e64 s19, v135, v123
	v_lshl_or_b32 v123, v70, 12, v75
	v_or_b32_e32 v111, v137, v111
	v_cndmask_b32_e64 v124, 0, 1, s1
	s_wait_alu 0xfffd
	v_cndmask_b32_e64 v94, 0, 1, vcc_lo
	v_cmp_gt_i32_e32 vcc_lo, 1, v59
	v_cndmask_b32_e64 v137, 0, 1, s3
	v_lshl_or_b32 v135, v69, 12, v79
	v_cndmask_b32_e64 v116, 0, 1, s2
	v_or_b32_e32 v124, v139, v124
	s_wait_alu 0xfffd
	v_cndmask_b32_e32 v95, v121, v95, vcc_lo
	v_cmp_gt_i32_e32 vcc_lo, 1, v58
	v_cndmask_b32_e64 v139, 0, 1, s4
	v_or_b32_e32 v92, v92, v137
	v_cndmask_b32_e64 v137, 0, 1, s6
	v_or_b32_e32 v116, v132, v116
	s_wait_alu 0xfffd
	v_cndmask_b32_e32 v118, v127, v118, vcc_lo
	v_cmp_gt_i32_e32 vcc_lo, 1, v57
	v_cndmask_b32_e64 v132, 0, 1, s5
	v_or_b32_e32 v138, v138, v139
	v_cndmask_b32_e64 v139, 0, 1, s7
	v_or_b32_e32 v128, v128, v137
	s_wait_alu 0xfffd
	v_cndmask_b32_e32 v109, v130, v109, vcc_lo
	v_cmp_gt_i32_e32 vcc_lo, 1, v56
	v_lshl_or_b32 v137, v68, 12, v100
	v_or_b32_e32 v125, v125, v132
	v_cndmask_b32_e64 v132, 0, 1, s8
	v_or_b32_e32 v98, v98, v139
	s_wait_alu 0xfffd
	v_cndmask_b32_e32 v111, v133, v111, vcc_lo
	v_cmp_ne_u32_e32 vcc_lo, 0, v73
	v_lshl_or_b32 v139, v67, 12, v108
	v_or_b32_e32 v132, v134, v132
	v_lshl_or_b32 v134, v66, 12, v110
	v_cndmask_b32_e64 v122, 0, 1, s9
	s_wait_alu 0xfffd
	v_cndmask_b32_e64 v73, 0, 1, vcc_lo
	v_cmp_ne_u32_e32 vcc_lo, 0, v75
	v_lshl_or_b32 v121, v65, 12, v112
	v_or_b32_e32 v87, v87, v94
	v_cndmask_b32_e64 v94, 0, 1, s10
	v_or_b32_e32 v97, v97, v122
	s_wait_alu 0xfffd
	v_cndmask_b32_e64 v75, 0, 1, vcc_lo
	v_cmp_ne_u32_e32 vcc_lo, 0, v79
	v_lshl_or_b32 v122, v64, 12, v113
	v_cndmask_b32_e64 v127, 0, 1, s11
	v_or_b32_e32 v93, v93, v94
	v_lshl_or_b32 v94, v63, 12, v114
	s_wait_alu 0xfffd
	v_cndmask_b32_e64 v79, 0, 1, vcc_lo
	v_cmp_ne_u32_e32 vcc_lo, 0, v100
	v_or_b32_e32 v101, v101, v127
	v_lshl_or_b32 v127, v62, 12, v115
	v_cndmask_b32_e64 v130, 0, 1, s12
	v_lshl_or_b32 v133, v61, 12, v117
	s_wait_alu 0xfffd
	v_cndmask_b32_e64 v100, 0, 1, vcc_lo
	v_cmp_ne_u32_e32 vcc_lo, 0, v108
	v_lshl_or_b32 v99, v99, 9, 0x7c00
	v_or_b32_e32 v106, v106, v130
	v_lshl_or_b32 v130, v60, 12, v120
	v_lshl_or_b32 v80, v80, 9, 0x7c00
	s_wait_alu 0xfffd
	v_cndmask_b32_e64 v108, 0, 1, vcc_lo
	v_cmp_ne_u32_e32 vcc_lo, 0, v110
	v_lshl_or_b32 v81, v81, 9, 0x7c00
	v_lshl_or_b32 v83, v83, 9, 0x7c00
	v_lshl_or_b32 v85, v85, 9, 0x7c00
	v_lshl_or_b32 v91, v91, 9, 0x7c00
	s_wait_alu 0xfffd
	v_cndmask_b32_e64 v110, 0, 1, vcc_lo
	v_cmp_ne_u32_e32 vcc_lo, 0, v112
	v_lshl_or_b32 v72, v72, 9, 0x7c00
	v_lshl_or_b32 v74, v74, 9, 0x7c00
	;; [unrolled: 7-line block ×4, first 2 shown]
	v_lshl_or_b32 v112, v112, 9, 0x7c00
	v_lshl_or_b32 v113, v113, 9, 0x7c00
	s_wait_alu 0xfffd
	v_cndmask_b32_e64 v114, 0, 1, vcc_lo
	v_cmp_ne_u32_e32 vcc_lo, 0, v115
	s_delay_alu instid0(VALU_DEP_2) | instskip(SKIP_3) | instid1(VALU_DEP_2)
	v_lshl_or_b32 v114, v114, 9, 0x7c00
	s_wait_alu 0xfffd
	v_cndmask_b32_e64 v115, 0, 1, vcc_lo
	v_cmp_ne_u32_e32 vcc_lo, 0, v117
	v_lshl_or_b32 v115, v115, 9, 0x7c00
	s_wait_alu 0xfffd
	v_cndmask_b32_e64 v117, 0, 1, vcc_lo
	v_cmp_ne_u32_e32 vcc_lo, 0, v120
	s_delay_alu instid0(VALU_DEP_2) | instskip(SKIP_3) | instid1(VALU_DEP_2)
	v_lshl_or_b32 v117, v117, 9, 0x7c00
	s_wait_alu 0xfffd
	v_cndmask_b32_e64 v120, 0, 1, vcc_lo
	v_cmp_gt_i32_e32 vcc_lo, 1, v55
	v_lshl_or_b32 v120, v120, 9, 0x7c00
	s_wait_alu 0xfffd
	v_cndmask_b32_e32 v124, v136, v124, vcc_lo
	v_cmp_gt_i32_e32 vcc_lo, 1, v54
	v_cndmask_b32_e64 v136, 0, 1, s13
	s_wait_alu 0xfffd
	v_cndmask_b32_e32 v77, v77, v116, vcc_lo
	v_cmp_gt_i32_e32 vcc_lo, 1, v53
	s_delay_alu instid0(VALU_DEP_3)
	v_or_b32_e32 v103, v103, v136
	v_cndmask_b32_e64 v136, 0, 1, s14
	v_cndmask_b32_e64 v116, 0, 1, s15
	s_wait_alu 0xfffd
	v_cndmask_b32_e32 v84, v84, v92, vcc_lo
	v_cmp_gt_i32_e32 vcc_lo, 1, v52
	s_wait_alu 0xf1ff
	v_cndmask_b32_e64 v92, 0, 1, s17
	v_or_b32_e32 v105, v105, v136
	v_cndmask_b32_e64 v136, 0, 1, s16
	v_or_b32_e32 v102, v102, v116
	s_wait_alu 0xfffd
	v_cndmask_b32_e32 v119, v119, v138, vcc_lo
	v_cmp_gt_i32_e32 vcc_lo, 1, v51
	v_or_b32_e32 v92, v104, v92
	v_or_b32_e32 v107, v107, v136
	v_cndmask_b32_e64 v116, 0, 1, s18
	v_cndmask_b32_e64 v138, 0, 1, s19
	s_wait_alu 0xfffd
	v_cndmask_b32_e32 v86, v86, v125, vcc_lo
	v_cmp_gt_i32_e32 vcc_lo, 1, v50
	v_and_b32_e32 v125, 7, v77
	v_or_b32_e32 v90, v90, v116
	v_and_b32_e32 v116, 7, v118
	v_lshrrev_b32_e32 v118, 2, v118
	s_wait_alu 0xfffd
	v_cndmask_b32_e32 v89, v89, v128, vcc_lo
	v_cmp_gt_i32_e32 vcc_lo, 1, v49
	v_cmp_lt_i32_e64 s9, 5, v125
	v_cmp_lt_i32_e64 s1, 5, v116
	v_cmp_eq_u32_e64 s2, 3, v116
	v_cmp_eq_u32_e64 s10, 3, v125
	s_wait_alu 0xfffd
	v_cndmask_b32_e32 v96, v96, v98, vcc_lo
	v_cmp_gt_i32_e32 vcc_lo, 1, v48
	v_or_b32_e32 v98, v129, v138
	v_lshrrev_b32_e32 v77, 2, v77
	v_and_b32_e32 v128, 7, v86
	s_wait_alu 0xfffd
	v_dual_cndmask_b32 v104, v131, v132 :: v_dual_and_b32 v129, 7, v89
	v_cmp_gt_i32_e32 vcc_lo, 1, v71
	v_lshrrev_b32_e32 v86, 2, v86
	v_cmp_lt_i32_e64 s15, 5, v128
	v_cmp_eq_u32_e64 s16, 3, v128
	v_cmp_lt_i32_e64 s17, 5, v129
	s_wait_alu 0xfffd
	v_cndmask_b32_e32 v87, v126, v87, vcc_lo
	v_cmp_gt_i32_e32 vcc_lo, 1, v70
	v_and_b32_e32 v126, 7, v84
	v_lshrrev_b32_e32 v84, 2, v84
	v_cmp_eq_u32_e64 s18, 3, v129
	v_and_b32_e32 v131, 7, v104
	s_wait_alu 0xfffd
	v_cndmask_b32_e32 v97, v123, v97, vcc_lo
	v_cmp_gt_i32_e32 vcc_lo, 1, v69
	v_and_b32_e32 v123, 7, v124
	v_lshrrev_b32_e32 v124, 2, v124
	v_cmp_lt_i32_e64 s11, 5, v126
	v_and_b32_e32 v116, 7, v97
	s_wait_alu 0xfffd
	v_cndmask_b32_e32 v93, v135, v93, vcc_lo
	v_cmp_gt_i32_e32 vcc_lo, 1, v68
	v_cmp_lt_i32_e64 s7, 5, v123
	v_cmp_eq_u32_e64 s8, 3, v123
	v_cmp_eq_u32_e64 s12, 3, v126
	v_cmp_lt_i32_e64 s25, 5, v116
	s_wait_alu 0xfffd
	v_cndmask_b32_e32 v101, v137, v101, vcc_lo
	v_cmp_gt_i32_e32 vcc_lo, 1, v67
	v_cmp_eq_u32_e64 s26, 3, v116
	v_lshrrev_b32_e32 v89, 2, v89
	v_cmp_lt_i32_e64 s21, 5, v131
	v_cmp_eq_u32_e64 s22, 3, v131
	s_wait_alu 0xfffd
	v_cndmask_b32_e32 v106, v139, v106, vcc_lo
	v_cmp_gt_i32_e32 vcc_lo, 1, v66
	v_lshrrev_b32_e32 v104, 2, v104
	v_lshrrev_b32_e32 v97, 2, v97
	s_delay_alu instid0(VALU_DEP_4)
	v_and_b32_e32 v123, 7, v106
	s_wait_alu 0xfffd
	v_cndmask_b32_e32 v103, v134, v103, vcc_lo
	v_cmp_gt_i32_e32 vcc_lo, 1, v65
	v_lshrrev_b32_e32 v106, 2, v106
	v_cmp_lt_i32_e64 s31, 5, v123
	s_delay_alu instid0(VALU_DEP_4)
	v_and_b32_e32 v125, 7, v103
	s_wait_alu 0xfffd
	v_cndmask_b32_e32 v105, v121, v105, vcc_lo
	v_cmp_gt_i32_e32 vcc_lo, 1, v64
	v_and_b32_e32 v121, 7, v109
	v_lshrrev_b32_e32 v109, 2, v109
	v_cmp_eq_u32_e64 s33, 3, v123
	v_and_b32_e32 v126, 7, v105
	s_wait_alu 0xfffd
	v_cndmask_b32_e32 v102, v122, v102, vcc_lo
	v_cmp_gt_i32_e32 vcc_lo, 1, v63
	v_and_b32_e32 v122, 7, v111
	v_cmp_lt_i32_e64 s3, 5, v121
	v_cmp_eq_u32_e64 s4, 3, v121
	v_lshrrev_b32_e32 v111, 2, v111
	s_wait_alu 0xfffd
	v_cndmask_b32_e32 v94, v94, v107, vcc_lo
	v_cmp_gt_i32_e32 vcc_lo, 1, v62
	v_and_b32_e32 v107, 7, v95
	v_lshrrev_b32_e32 v95, 2, v95
	v_cmp_lt_i32_e64 s5, 5, v122
	v_cmp_eq_u32_e64 s6, 3, v122
	s_wait_alu 0xfffd
	v_cndmask_b32_e32 v92, v127, v92, vcc_lo
	v_cmp_gt_i32_e32 vcc_lo, 1, v61
	v_cmp_eq_u32_e64 s0, 3, v107
	v_and_b32_e32 v127, 7, v119
	v_lshrrev_b32_e32 v119, 2, v119
	s_wait_alu 0xfffd
	v_dual_cndmask_b32 v90, v133, v90 :: v_dual_and_b32 v121, 7, v93
	v_cmp_gt_i32_e32 vcc_lo, 1, v60
	v_cmp_lt_i32_e64 s13, 5, v127
	v_cmp_eq_u32_e64 s14, 3, v127
	v_and_b32_e32 v122, 7, v101
	v_cmp_lt_i32_e64 s27, 5, v121
	s_wait_alu 0xfffd
	v_cndmask_b32_e32 v98, v130, v98, vcc_lo
	v_cmp_lt_i32_e32 vcc_lo, 5, v107
	v_and_b32_e32 v107, 7, v87
	v_and_b32_e32 v130, 7, v96
	v_lshrrev_b32_e32 v96, 2, v96
	v_lshrrev_b32_e32 v87, 2, v87
	s_or_b32 vcc_lo, s0, vcc_lo
	v_cmp_lt_i32_e64 s23, 5, v107
	s_wait_alu 0xfffe
	v_add_co_ci_u32_e32 v95, vcc_lo, 0, v95, vcc_lo
	s_or_b32 vcc_lo, s2, s1
	v_cmp_eq_u32_e64 s24, 3, v107
	s_wait_alu 0xfffe
	v_add_co_ci_u32_e32 v107, vcc_lo, 0, v118, vcc_lo
	s_or_b32 vcc_lo, s4, s3
	v_cmp_lt_i32_e64 s19, 5, v130
	s_wait_alu 0xfffe
	v_add_co_ci_u32_e32 v109, vcc_lo, 0, v109, vcc_lo
	s_or_b32 vcc_lo, s6, s5
	v_cmp_eq_u32_e64 s20, 3, v130
	s_wait_alu 0xfffe
	v_add_co_ci_u32_e32 v111, vcc_lo, 0, v111, vcc_lo
	s_or_b32 vcc_lo, s8, s7
	v_cmp_eq_u32_e64 s28, 3, v121
	s_wait_alu 0xfffe
	v_add_co_ci_u32_e32 v116, vcc_lo, 0, v124, vcc_lo
	s_or_b32 vcc_lo, s10, s9
	v_lshrrev_b32_e32 v93, 2, v93
	s_wait_alu 0xfffe
	v_add_co_ci_u32_e32 v77, vcc_lo, 0, v77, vcc_lo
	s_or_b32 vcc_lo, s12, s11
	v_cmp_lt_i32_e64 s29, 5, v122
	s_wait_alu 0xfffe
	v_add_co_ci_u32_e32 v84, vcc_lo, 0, v84, vcc_lo
	s_or_b32 vcc_lo, s14, s13
	v_cmp_eq_u32_e64 s30, 3, v122
	s_wait_alu 0xfffe
	v_add_co_ci_u32_e32 v118, vcc_lo, 0, v119, vcc_lo
	s_or_b32 vcc_lo, s16, s15
	v_lshrrev_b32_e32 v101, 2, v101
	s_wait_alu 0xfffe
	v_add_co_ci_u32_e32 v86, vcc_lo, 0, v86, vcc_lo
	s_or_b32 vcc_lo, s18, s17
	v_cmp_lt_i32_e64 s34, 5, v125
	s_wait_alu 0xfffe
	v_add_co_ci_u32_e32 v89, vcc_lo, 0, v89, vcc_lo
	s_or_b32 vcc_lo, s20, s19
	v_cmp_eq_u32_e64 s35, 3, v125
	s_wait_alu 0xfffe
	v_add_co_ci_u32_e32 v96, vcc_lo, 0, v96, vcc_lo
	s_or_b32 vcc_lo, s22, s21
	v_and_b32_e32 v127, 7, v102
	s_wait_alu 0xfffe
	v_add_co_ci_u32_e32 v104, vcc_lo, 0, v104, vcc_lo
	s_or_b32 vcc_lo, s24, s23
	v_lshrrev_b32_e32 v103, 2, v103
	s_wait_alu 0xfffe
	v_add_co_ci_u32_e32 v87, vcc_lo, 0, v87, vcc_lo
	v_cmp_gt_i32_e32 vcc_lo, 31, v59
	v_cmp_lt_i32_e64 s36, 5, v126
	v_cmp_eq_u32_e64 s37, 3, v126
	v_and_b32_e32 v128, 7, v94
	v_lshrrev_b32_e32 v105, 2, v105
	s_wait_alu 0xfffd
	v_cndmask_b32_e32 v95, 0x7c00, v95, vcc_lo
	s_or_b32 vcc_lo, s26, s25
	v_cmp_lt_i32_e64 s38, 5, v127
	s_wait_alu 0xfffe
	v_add_co_ci_u32_e32 v97, vcc_lo, 0, v97, vcc_lo
	v_cmp_gt_i32_e32 vcc_lo, 31, v58
	v_cmp_eq_u32_e64 s39, 3, v127
	v_and_b32_e32 v129, 7, v92
	v_lshrrev_b32_e32 v102, 2, v102
	v_cmp_lt_i32_e64 s40, 5, v128
	s_wait_alu 0xfffd
	v_cndmask_b32_e32 v107, 0x7c00, v107, vcc_lo
	v_cmp_gt_i32_e32 vcc_lo, 31, v57
	v_cmp_eq_u32_e64 s41, 3, v128
	v_and_b32_e32 v130, 7, v90
	v_lshrrev_b32_e32 v94, 2, v94
	v_cmp_lt_i32_e64 s42, 5, v129
	s_wait_alu 0xfffd
	v_cndmask_b32_e32 v109, 0x7c00, v109, vcc_lo
	;; [unrolled: 7-line block ×3, first 2 shown]
	v_cmp_gt_i32_e32 vcc_lo, 31, v55
	v_cmp_eq_u32_e64 s45, 3, v130
	v_lshrrev_b32_e32 v90, 2, v90
	v_cmp_lt_i32_e64 s46, 5, v131
	v_cmp_eq_u32_e64 s47, 3, v131
	s_wait_alu 0xfffd
	v_cndmask_b32_e32 v116, 0x7c00, v116, vcc_lo
	v_cmp_gt_i32_e32 vcc_lo, 31, v54
	v_lshrrev_b32_e32 v98, 2, v98
	s_wait_alu 0xfffd
	v_cndmask_b32_e32 v77, 0x7c00, v77, vcc_lo
	v_cmp_gt_i32_e32 vcc_lo, 31, v53
	s_wait_alu 0xfffd
	v_cndmask_b32_e32 v84, 0x7c00, v84, vcc_lo
	v_cmp_gt_i32_e32 vcc_lo, 31, v52
	;; [unrolled: 3-line block ×6, first 2 shown]
	s_wait_alu 0xfffd
	v_cndmask_b32_e32 v104, 0x7c00, v104, vcc_lo
	s_or_b32 vcc_lo, s28, s27
	s_wait_alu 0xfffe
	v_add_co_ci_u32_e32 v93, vcc_lo, 0, v93, vcc_lo
	s_or_b32 vcc_lo, s30, s29
	s_wait_alu 0xfffe
	v_add_co_ci_u32_e32 v101, vcc_lo, 0, v101, vcc_lo
	;; [unrolled: 3-line block ×10, first 2 shown]
	v_cmp_gt_i32_e32 vcc_lo, 31, v71
	s_wait_alu 0xfffd
	v_cndmask_b32_e32 v87, 0x7c00, v87, vcc_lo
	v_cmp_eq_u32_e32 vcc_lo, 0x40f, v59
	s_wait_alu 0xfffd
	v_cndmask_b32_e32 v59, v95, v99, vcc_lo
	v_cmp_gt_i32_e32 vcc_lo, 31, v70
	s_delay_alu instid0(VALU_DEP_2)
	v_and_or_b32 v35, 0x8000, v35, v59
	s_wait_alu 0xfffd
	v_cndmask_b32_e32 v95, 0x7c00, v97, vcc_lo
	v_cmp_eq_u32_e32 vcc_lo, 0x40f, v58
	s_wait_alu 0xfffd
	v_cndmask_b32_e32 v58, v107, v80, vcc_lo
	v_cmp_eq_u32_e32 vcc_lo, 0x40f, v57
	s_delay_alu instid0(VALU_DEP_2) | instskip(SKIP_3) | instid1(VALU_DEP_2)
	v_and_or_b32 v34, 0x8000, v34, v58
	s_wait_alu 0xfffd
	v_cndmask_b32_e32 v57, v109, v82, vcc_lo
	v_cmp_eq_u32_e32 vcc_lo, 0x40f, v56
	v_and_or_b32 v33, 0x8000, v33, v57
	s_wait_alu 0xfffd
	v_cndmask_b32_e32 v56, v111, v81, vcc_lo
	v_cmp_eq_u32_e32 vcc_lo, 0x40f, v55
	s_delay_alu instid0(VALU_DEP_2) | instskip(SKIP_3) | instid1(VALU_DEP_2)
	v_and_or_b32 v32, 0x8000, v32, v56
	s_wait_alu 0xfffd
	v_cndmask_b32_e32 v55, v116, v83, vcc_lo
	v_cmp_eq_u32_e32 vcc_lo, 0x40f, v54
	v_and_or_b32 v31, 0x8000, v31, v55
	;; [unrolled: 9-line block ×5, first 2 shown]
	s_wait_alu 0xfffd
	v_cndmask_b32_e32 v48, v104, v78, vcc_lo
	v_cmp_gt_i32_e32 vcc_lo, 31, v69
	s_delay_alu instid0(VALU_DEP_2)
	v_and_or_b32 v24, 0x8000, v24, v48
	s_wait_alu 0xfffd
	v_cndmask_b32_e32 v72, 0x7c00, v93, vcc_lo
	v_cmp_gt_i32_e32 vcc_lo, 31, v68
	s_wait_alu 0xfffd
	v_cndmask_b32_e32 v74, 0x7c00, v101, vcc_lo
	v_cmp_gt_i32_e32 vcc_lo, 31, v67
	;; [unrolled: 3-line block ×9, first 2 shown]
	s_wait_alu 0xfffd
	v_cndmask_b32_e32 v84, 0x7c00, v98, vcc_lo
	v_cmp_eq_u32_e32 vcc_lo, 0x40f, v71
	s_wait_alu 0xfffd
	v_cndmask_b32_e32 v71, v87, v73, vcc_lo
	v_cmp_eq_u32_e32 vcc_lo, 0x40f, v70
	s_delay_alu instid0(VALU_DEP_2) | instskip(SKIP_3) | instid1(VALU_DEP_3)
	v_and_or_b32 v36, 0x8000, v36, v71
	s_wait_alu 0xfffd
	v_cndmask_b32_e32 v59, v95, v75, vcc_lo
	v_cmp_eq_u32_e32 vcc_lo, 0x40f, v69
	v_and_b32_e32 v36, 0xffff, v36
	s_delay_alu instid0(VALU_DEP_3)
	v_and_or_b32 v37, 0x8000, v37, v59
	s_wait_alu 0xfffd
	v_cndmask_b32_e32 v58, v72, v79, vcc_lo
	v_cmp_eq_u32_e32 vcc_lo, 0x40f, v68
	v_lshl_or_b32 v35, v35, 16, v36
	v_and_b32_e32 v37, 0xffff, v37
	s_delay_alu instid0(VALU_DEP_4)
	v_and_or_b32 v38, 0x8000, v38, v58
	s_wait_alu 0xfffd
	v_cndmask_b32_e32 v57, v74, v100, vcc_lo
	v_cmp_eq_u32_e32 vcc_lo, 0x40f, v67
	v_lshl_or_b32 v34, v34, 16, v37
	v_and_b32_e32 v38, 0xffff, v38
	s_delay_alu instid0(VALU_DEP_4)
	;; [unrolled: 7-line block ×8, first 2 shown]
	v_and_or_b32 v45, 0x8000, v45, v51
	s_wait_alu 0xfffd
	v_cndmask_b32_e32 v50, v83, v117, vcc_lo
	v_cmp_eq_u32_e32 vcc_lo, 0x40f, v60
	v_lshl_or_b32 v27, v27, 16, v44
	v_and_b32_e32 v45, 0xffff, v45
	s_delay_alu instid0(VALU_DEP_4) | instskip(SKIP_2) | instid1(VALU_DEP_3)
	v_and_or_b32 v46, 0x8000, v46, v50
	s_wait_alu 0xfffd
	v_cndmask_b32_e32 v49, v84, v120, vcc_lo
	v_lshl_or_b32 v26, v26, 16, v45
	s_delay_alu instid0(VALU_DEP_3) | instskip(NEXT) | instid1(VALU_DEP_3)
	v_and_b32_e32 v46, 0xffff, v46
	v_and_or_b32 v47, 0x8000, v47, v49
	s_delay_alu instid0(VALU_DEP_2) | instskip(NEXT) | instid1(VALU_DEP_2)
	v_lshl_or_b32 v25, v25, 16, v46
	v_and_b32_e32 v47, 0xffff, v47
	s_delay_alu instid0(VALU_DEP_1)
	v_lshl_or_b32 v24, v24, 16, v47
	s_clause 0x6
	global_store_b32 v[0:1], v35, off
	global_store_b32 v[2:3], v34, off
	;; [unrolled: 1-line block ×12, first 2 shown]
.LBB0_2:
	s_nop 0
	s_sendmsg sendmsg(MSG_DEALLOC_VGPRS)
	s_endpgm
	.section	.rodata,"a",@progbits
	.p2align	6, 0x0
	.amdhsa_kernel bluestein_single_back_len2304_dim1_half_op_CI_CI
		.amdhsa_group_segment_fixed_size 9216
		.amdhsa_private_segment_fixed_size 0
		.amdhsa_kernarg_size 104
		.amdhsa_user_sgpr_count 2
		.amdhsa_user_sgpr_dispatch_ptr 0
		.amdhsa_user_sgpr_queue_ptr 0
		.amdhsa_user_sgpr_kernarg_segment_ptr 1
		.amdhsa_user_sgpr_dispatch_id 0
		.amdhsa_user_sgpr_private_segment_size 0
		.amdhsa_wavefront_size32 1
		.amdhsa_uses_dynamic_stack 0
		.amdhsa_enable_private_segment 0
		.amdhsa_system_sgpr_workgroup_id_x 1
		.amdhsa_system_sgpr_workgroup_id_y 0
		.amdhsa_system_sgpr_workgroup_id_z 0
		.amdhsa_system_sgpr_workgroup_info 0
		.amdhsa_system_vgpr_workitem_id 0
		.amdhsa_next_free_vgpr 145
		.amdhsa_next_free_sgpr 48
		.amdhsa_reserve_vcc 1
		.amdhsa_float_round_mode_32 0
		.amdhsa_float_round_mode_16_64 0
		.amdhsa_float_denorm_mode_32 3
		.amdhsa_float_denorm_mode_16_64 3
		.amdhsa_fp16_overflow 0
		.amdhsa_workgroup_processor_mode 1
		.amdhsa_memory_ordered 1
		.amdhsa_forward_progress 0
		.amdhsa_round_robin_scheduling 0
		.amdhsa_exception_fp_ieee_invalid_op 0
		.amdhsa_exception_fp_denorm_src 0
		.amdhsa_exception_fp_ieee_div_zero 0
		.amdhsa_exception_fp_ieee_overflow 0
		.amdhsa_exception_fp_ieee_underflow 0
		.amdhsa_exception_fp_ieee_inexact 0
		.amdhsa_exception_int_div_zero 0
	.end_amdhsa_kernel
	.text
.Lfunc_end0:
	.size	bluestein_single_back_len2304_dim1_half_op_CI_CI, .Lfunc_end0-bluestein_single_back_len2304_dim1_half_op_CI_CI
                                        ; -- End function
	.section	.AMDGPU.csdata,"",@progbits
; Kernel info:
; codeLenInByte = 19524
; NumSgprs: 50
; NumVgprs: 145
; ScratchSize: 0
; MemoryBound: 0
; FloatMode: 240
; IeeeMode: 1
; LDSByteSize: 9216 bytes/workgroup (compile time only)
; SGPRBlocks: 6
; VGPRBlocks: 18
; NumSGPRsForWavesPerEU: 50
; NumVGPRsForWavesPerEU: 145
; Occupancy: 9
; WaveLimiterHint : 1
; COMPUTE_PGM_RSRC2:SCRATCH_EN: 0
; COMPUTE_PGM_RSRC2:USER_SGPR: 2
; COMPUTE_PGM_RSRC2:TRAP_HANDLER: 0
; COMPUTE_PGM_RSRC2:TGID_X_EN: 1
; COMPUTE_PGM_RSRC2:TGID_Y_EN: 0
; COMPUTE_PGM_RSRC2:TGID_Z_EN: 0
; COMPUTE_PGM_RSRC2:TIDIG_COMP_CNT: 0
	.text
	.p2alignl 7, 3214868480
	.fill 96, 4, 3214868480
	.type	__hip_cuid_7eb82d794ac826be,@object ; @__hip_cuid_7eb82d794ac826be
	.section	.bss,"aw",@nobits
	.globl	__hip_cuid_7eb82d794ac826be
__hip_cuid_7eb82d794ac826be:
	.byte	0                               ; 0x0
	.size	__hip_cuid_7eb82d794ac826be, 1

	.ident	"AMD clang version 19.0.0git (https://github.com/RadeonOpenCompute/llvm-project roc-6.4.0 25133 c7fe45cf4b819c5991fe208aaa96edf142730f1d)"
	.section	".note.GNU-stack","",@progbits
	.addrsig
	.addrsig_sym __hip_cuid_7eb82d794ac826be
	.amdgpu_metadata
---
amdhsa.kernels:
  - .args:
      - .actual_access:  read_only
        .address_space:  global
        .offset:         0
        .size:           8
        .value_kind:     global_buffer
      - .actual_access:  read_only
        .address_space:  global
        .offset:         8
        .size:           8
        .value_kind:     global_buffer
      - .actual_access:  read_only
        .address_space:  global
        .offset:         16
        .size:           8
        .value_kind:     global_buffer
      - .actual_access:  read_only
        .address_space:  global
        .offset:         24
        .size:           8
        .value_kind:     global_buffer
      - .actual_access:  read_only
        .address_space:  global
        .offset:         32
        .size:           8
        .value_kind:     global_buffer
      - .offset:         40
        .size:           8
        .value_kind:     by_value
      - .address_space:  global
        .offset:         48
        .size:           8
        .value_kind:     global_buffer
      - .address_space:  global
        .offset:         56
        .size:           8
        .value_kind:     global_buffer
      - .address_space:  global
        .offset:         64
        .size:           8
        .value_kind:     global_buffer
      - .address_space:  global
        .offset:         72
        .size:           8
        .value_kind:     global_buffer
      - .offset:         80
        .size:           4
        .value_kind:     by_value
      - .address_space:  global
        .offset:         88
        .size:           8
        .value_kind:     global_buffer
      - .address_space:  global
        .offset:         96
        .size:           8
        .value_kind:     global_buffer
    .group_segment_fixed_size: 9216
    .kernarg_segment_align: 8
    .kernarg_segment_size: 104
    .language:       OpenCL C
    .language_version:
      - 2
      - 0
    .max_flat_workgroup_size: 192
    .name:           bluestein_single_back_len2304_dim1_half_op_CI_CI
    .private_segment_fixed_size: 0
    .sgpr_count:     50
    .sgpr_spill_count: 0
    .symbol:         bluestein_single_back_len2304_dim1_half_op_CI_CI.kd
    .uniform_work_group_size: 1
    .uses_dynamic_stack: false
    .vgpr_count:     145
    .vgpr_spill_count: 0
    .wavefront_size: 32
    .workgroup_processor_mode: 1
amdhsa.target:   amdgcn-amd-amdhsa--gfx1201
amdhsa.version:
  - 1
  - 2
...

	.end_amdgpu_metadata
